;; amdgpu-corpus repo=ROCm/rocFFT kind=compiled arch=gfx1201 opt=O3
	.text
	.amdgcn_target "amdgcn-amd-amdhsa--gfx1201"
	.amdhsa_code_object_version 6
	.protected	fft_rtc_fwd_len1360_factors_17_5_16_wgs_255_tpt_85_halfLds_sp_ip_CI_unitstride_sbrr_R2C_dirReg ; -- Begin function fft_rtc_fwd_len1360_factors_17_5_16_wgs_255_tpt_85_halfLds_sp_ip_CI_unitstride_sbrr_R2C_dirReg
	.globl	fft_rtc_fwd_len1360_factors_17_5_16_wgs_255_tpt_85_halfLds_sp_ip_CI_unitstride_sbrr_R2C_dirReg
	.p2align	8
	.type	fft_rtc_fwd_len1360_factors_17_5_16_wgs_255_tpt_85_halfLds_sp_ip_CI_unitstride_sbrr_R2C_dirReg,@function
fft_rtc_fwd_len1360_factors_17_5_16_wgs_255_tpt_85_halfLds_sp_ip_CI_unitstride_sbrr_R2C_dirReg: ; @fft_rtc_fwd_len1360_factors_17_5_16_wgs_255_tpt_85_halfLds_sp_ip_CI_unitstride_sbrr_R2C_dirReg
; %bb.0:
	s_load_b128 s[4:7], s[0:1], 0x0
	v_mul_u32_u24_e32 v1, 0x304, v0
	s_clause 0x1
	s_load_b64 s[8:9], s[0:1], 0x50
	s_load_b64 s[10:11], s[0:1], 0x18
	v_mov_b32_e32 v5, 0
	v_lshrrev_b32_e32 v1, 16, v1
	s_delay_alu instid0(VALU_DEP_1) | instskip(SKIP_3) | instid1(VALU_DEP_1)
	v_mad_co_u64_u32 v[1:2], null, ttmp9, 3, v[1:2]
	v_mov_b32_e32 v3, 0
	v_mov_b32_e32 v4, 0
	;; [unrolled: 1-line block ×4, first 2 shown]
	s_wait_kmcnt 0x0
	v_cmp_lt_u64_e64 s2, s[6:7], 2
	v_mov_b32_e32 v9, v1
	s_delay_alu instid0(VALU_DEP_2)
	s_and_b32 vcc_lo, exec_lo, s2
	s_cbranch_vccnz .LBB0_8
; %bb.1:
	s_load_b64 s[2:3], s[0:1], 0x10
	v_dual_mov_b32 v3, 0 :: v_dual_mov_b32 v8, v2
	v_dual_mov_b32 v4, 0 :: v_dual_mov_b32 v7, v1
	s_add_nc_u64 s[12:13], s[10:11], 8
	s_mov_b64 s[14:15], 1
	s_wait_kmcnt 0x0
	s_add_nc_u64 s[16:17], s[2:3], 8
	s_mov_b32 s3, 0
.LBB0_2:                                ; =>This Inner Loop Header: Depth=1
	s_load_b64 s[18:19], s[16:17], 0x0
                                        ; implicit-def: $vgpr9_vgpr10
	s_mov_b32 s2, exec_lo
	s_wait_kmcnt 0x0
	v_or_b32_e32 v6, s19, v8
	s_delay_alu instid0(VALU_DEP_1)
	v_cmpx_ne_u64_e32 0, v[5:6]
	s_wait_alu 0xfffe
	s_xor_b32 s20, exec_lo, s2
	s_cbranch_execz .LBB0_4
; %bb.3:                                ;   in Loop: Header=BB0_2 Depth=1
	s_cvt_f32_u32 s2, s18
	s_cvt_f32_u32 s21, s19
	s_sub_nc_u64 s[24:25], 0, s[18:19]
	s_wait_alu 0xfffe
	s_delay_alu instid0(SALU_CYCLE_1) | instskip(SKIP_1) | instid1(SALU_CYCLE_2)
	s_fmamk_f32 s2, s21, 0x4f800000, s2
	s_wait_alu 0xfffe
	v_s_rcp_f32 s2, s2
	s_delay_alu instid0(TRANS32_DEP_1) | instskip(SKIP_1) | instid1(SALU_CYCLE_2)
	s_mul_f32 s2, s2, 0x5f7ffffc
	s_wait_alu 0xfffe
	s_mul_f32 s21, s2, 0x2f800000
	s_wait_alu 0xfffe
	s_delay_alu instid0(SALU_CYCLE_2) | instskip(SKIP_1) | instid1(SALU_CYCLE_2)
	s_trunc_f32 s21, s21
	s_wait_alu 0xfffe
	s_fmamk_f32 s2, s21, 0xcf800000, s2
	s_cvt_u32_f32 s23, s21
	s_wait_alu 0xfffe
	s_delay_alu instid0(SALU_CYCLE_1) | instskip(SKIP_1) | instid1(SALU_CYCLE_2)
	s_cvt_u32_f32 s22, s2
	s_wait_alu 0xfffe
	s_mul_u64 s[26:27], s[24:25], s[22:23]
	s_wait_alu 0xfffe
	s_mul_hi_u32 s29, s22, s27
	s_mul_i32 s28, s22, s27
	s_mul_hi_u32 s2, s22, s26
	s_mul_i32 s30, s23, s26
	s_wait_alu 0xfffe
	s_add_nc_u64 s[28:29], s[2:3], s[28:29]
	s_mul_hi_u32 s21, s23, s26
	s_mul_hi_u32 s31, s23, s27
	s_add_co_u32 s2, s28, s30
	s_wait_alu 0xfffe
	s_add_co_ci_u32 s2, s29, s21
	s_mul_i32 s26, s23, s27
	s_add_co_ci_u32 s27, s31, 0
	s_wait_alu 0xfffe
	s_add_nc_u64 s[26:27], s[2:3], s[26:27]
	s_wait_alu 0xfffe
	v_add_co_u32 v2, s2, s22, s26
	s_delay_alu instid0(VALU_DEP_1) | instskip(SKIP_1) | instid1(VALU_DEP_1)
	s_cmp_lg_u32 s2, 0
	s_add_co_ci_u32 s23, s23, s27
	v_readfirstlane_b32 s22, v2
	s_wait_alu 0xfffe
	s_delay_alu instid0(VALU_DEP_1)
	s_mul_u64 s[24:25], s[24:25], s[22:23]
	s_wait_alu 0xfffe
	s_mul_hi_u32 s27, s22, s25
	s_mul_i32 s26, s22, s25
	s_mul_hi_u32 s2, s22, s24
	s_mul_i32 s28, s23, s24
	s_wait_alu 0xfffe
	s_add_nc_u64 s[26:27], s[2:3], s[26:27]
	s_mul_hi_u32 s21, s23, s24
	s_mul_hi_u32 s22, s23, s25
	s_wait_alu 0xfffe
	s_add_co_u32 s2, s26, s28
	s_add_co_ci_u32 s2, s27, s21
	s_mul_i32 s24, s23, s25
	s_add_co_ci_u32 s25, s22, 0
	s_wait_alu 0xfffe
	s_add_nc_u64 s[24:25], s[2:3], s[24:25]
	s_wait_alu 0xfffe
	v_add_co_u32 v2, s2, v2, s24
	s_delay_alu instid0(VALU_DEP_1) | instskip(SKIP_1) | instid1(VALU_DEP_1)
	s_cmp_lg_u32 s2, 0
	s_add_co_ci_u32 s2, s23, s25
	v_mul_hi_u32 v6, v7, v2
	s_wait_alu 0xfffe
	v_mad_co_u64_u32 v[9:10], null, v7, s2, 0
	v_mad_co_u64_u32 v[11:12], null, v8, v2, 0
	;; [unrolled: 1-line block ×3, first 2 shown]
	s_delay_alu instid0(VALU_DEP_3) | instskip(SKIP_1) | instid1(VALU_DEP_4)
	v_add_co_u32 v2, vcc_lo, v6, v9
	s_wait_alu 0xfffd
	v_add_co_ci_u32_e32 v6, vcc_lo, 0, v10, vcc_lo
	s_delay_alu instid0(VALU_DEP_2) | instskip(SKIP_1) | instid1(VALU_DEP_2)
	v_add_co_u32 v2, vcc_lo, v2, v11
	s_wait_alu 0xfffd
	v_add_co_ci_u32_e32 v2, vcc_lo, v6, v12, vcc_lo
	s_wait_alu 0xfffd
	v_add_co_ci_u32_e32 v6, vcc_lo, 0, v14, vcc_lo
	s_delay_alu instid0(VALU_DEP_2) | instskip(SKIP_1) | instid1(VALU_DEP_2)
	v_add_co_u32 v2, vcc_lo, v2, v13
	s_wait_alu 0xfffd
	v_add_co_ci_u32_e32 v6, vcc_lo, 0, v6, vcc_lo
	s_delay_alu instid0(VALU_DEP_2) | instskip(SKIP_1) | instid1(VALU_DEP_3)
	v_mul_lo_u32 v11, s19, v2
	v_mad_co_u64_u32 v[9:10], null, s18, v2, 0
	v_mul_lo_u32 v12, s18, v6
	s_delay_alu instid0(VALU_DEP_2) | instskip(NEXT) | instid1(VALU_DEP_2)
	v_sub_co_u32 v9, vcc_lo, v7, v9
	v_add3_u32 v10, v10, v12, v11
	s_delay_alu instid0(VALU_DEP_1) | instskip(SKIP_1) | instid1(VALU_DEP_1)
	v_sub_nc_u32_e32 v11, v8, v10
	s_wait_alu 0xfffd
	v_subrev_co_ci_u32_e64 v11, s2, s19, v11, vcc_lo
	v_add_co_u32 v12, s2, v2, 2
	s_wait_alu 0xf1ff
	v_add_co_ci_u32_e64 v13, s2, 0, v6, s2
	v_sub_co_u32 v14, s2, v9, s18
	v_sub_co_ci_u32_e32 v10, vcc_lo, v8, v10, vcc_lo
	s_wait_alu 0xf1ff
	v_subrev_co_ci_u32_e64 v11, s2, 0, v11, s2
	s_delay_alu instid0(VALU_DEP_3) | instskip(NEXT) | instid1(VALU_DEP_3)
	v_cmp_le_u32_e32 vcc_lo, s18, v14
	v_cmp_eq_u32_e64 s2, s19, v10
	s_wait_alu 0xfffd
	v_cndmask_b32_e64 v14, 0, -1, vcc_lo
	v_cmp_le_u32_e32 vcc_lo, s19, v11
	s_wait_alu 0xfffd
	v_cndmask_b32_e64 v15, 0, -1, vcc_lo
	v_cmp_le_u32_e32 vcc_lo, s18, v9
	;; [unrolled: 3-line block ×3, first 2 shown]
	s_wait_alu 0xfffd
	v_cndmask_b32_e64 v16, 0, -1, vcc_lo
	v_cmp_eq_u32_e32 vcc_lo, s19, v11
	s_wait_alu 0xf1ff
	s_delay_alu instid0(VALU_DEP_2)
	v_cndmask_b32_e64 v9, v16, v9, s2
	s_wait_alu 0xfffd
	v_cndmask_b32_e32 v11, v15, v14, vcc_lo
	v_add_co_u32 v14, vcc_lo, v2, 1
	s_wait_alu 0xfffd
	v_add_co_ci_u32_e32 v15, vcc_lo, 0, v6, vcc_lo
	s_delay_alu instid0(VALU_DEP_3) | instskip(SKIP_1) | instid1(VALU_DEP_2)
	v_cmp_ne_u32_e32 vcc_lo, 0, v11
	s_wait_alu 0xfffd
	v_dual_cndmask_b32 v10, v15, v13 :: v_dual_cndmask_b32 v11, v14, v12
	v_cmp_ne_u32_e32 vcc_lo, 0, v9
	s_wait_alu 0xfffd
	s_delay_alu instid0(VALU_DEP_2) | instskip(NEXT) | instid1(VALU_DEP_3)
	v_cndmask_b32_e32 v10, v6, v10, vcc_lo
	v_cndmask_b32_e32 v9, v2, v11, vcc_lo
.LBB0_4:                                ;   in Loop: Header=BB0_2 Depth=1
	s_wait_alu 0xfffe
	s_and_not1_saveexec_b32 s2, s20
	s_cbranch_execz .LBB0_6
; %bb.5:                                ;   in Loop: Header=BB0_2 Depth=1
	v_cvt_f32_u32_e32 v2, s18
	s_sub_co_i32 s20, 0, s18
	s_delay_alu instid0(VALU_DEP_1) | instskip(NEXT) | instid1(TRANS32_DEP_1)
	v_rcp_iflag_f32_e32 v2, v2
	v_mul_f32_e32 v2, 0x4f7ffffe, v2
	s_delay_alu instid0(VALU_DEP_1) | instskip(SKIP_1) | instid1(VALU_DEP_1)
	v_cvt_u32_f32_e32 v2, v2
	s_wait_alu 0xfffe
	v_mul_lo_u32 v6, s20, v2
	s_delay_alu instid0(VALU_DEP_1) | instskip(NEXT) | instid1(VALU_DEP_1)
	v_mul_hi_u32 v6, v2, v6
	v_add_nc_u32_e32 v2, v2, v6
	s_delay_alu instid0(VALU_DEP_1) | instskip(NEXT) | instid1(VALU_DEP_1)
	v_mul_hi_u32 v2, v7, v2
	v_mul_lo_u32 v6, v2, s18
	v_add_nc_u32_e32 v9, 1, v2
	s_delay_alu instid0(VALU_DEP_2) | instskip(NEXT) | instid1(VALU_DEP_1)
	v_sub_nc_u32_e32 v6, v7, v6
	v_subrev_nc_u32_e32 v10, s18, v6
	v_cmp_le_u32_e32 vcc_lo, s18, v6
	s_wait_alu 0xfffd
	s_delay_alu instid0(VALU_DEP_2) | instskip(SKIP_2) | instid1(VALU_DEP_3)
	v_cndmask_b32_e32 v6, v6, v10, vcc_lo
	v_mov_b32_e32 v10, v5
	v_cndmask_b32_e32 v2, v2, v9, vcc_lo
	v_cmp_le_u32_e32 vcc_lo, s18, v6
	s_delay_alu instid0(VALU_DEP_2) | instskip(SKIP_1) | instid1(VALU_DEP_1)
	v_add_nc_u32_e32 v9, 1, v2
	s_wait_alu 0xfffd
	v_cndmask_b32_e32 v9, v2, v9, vcc_lo
.LBB0_6:                                ;   in Loop: Header=BB0_2 Depth=1
	s_wait_alu 0xfffe
	s_or_b32 exec_lo, exec_lo, s2
	s_load_b64 s[20:21], s[12:13], 0x0
	v_mul_lo_u32 v2, v10, s18
	v_mul_lo_u32 v6, v9, s19
	v_mad_co_u64_u32 v[11:12], null, v9, s18, 0
	s_add_nc_u64 s[14:15], s[14:15], 1
	s_add_nc_u64 s[12:13], s[12:13], 8
	s_wait_alu 0xfffe
	v_cmp_ge_u64_e64 s2, s[14:15], s[6:7]
	s_add_nc_u64 s[16:17], s[16:17], 8
	s_delay_alu instid0(VALU_DEP_2) | instskip(NEXT) | instid1(VALU_DEP_3)
	v_add3_u32 v2, v12, v6, v2
	v_sub_co_u32 v6, vcc_lo, v7, v11
	s_wait_alu 0xfffd
	s_delay_alu instid0(VALU_DEP_2) | instskip(SKIP_3) | instid1(VALU_DEP_2)
	v_sub_co_ci_u32_e32 v2, vcc_lo, v8, v2, vcc_lo
	s_and_b32 vcc_lo, exec_lo, s2
	s_wait_kmcnt 0x0
	v_mul_lo_u32 v7, s21, v6
	v_mul_lo_u32 v2, s20, v2
	v_mad_co_u64_u32 v[3:4], null, s20, v6, v[3:4]
	s_delay_alu instid0(VALU_DEP_1)
	v_add3_u32 v4, v7, v4, v2
	s_wait_alu 0xfffe
	s_cbranch_vccnz .LBB0_8
; %bb.7:                                ;   in Loop: Header=BB0_2 Depth=1
	v_dual_mov_b32 v7, v9 :: v_dual_mov_b32 v8, v10
	s_branch .LBB0_2
.LBB0_8:
	s_lshl_b64 s[2:3], s[6:7], 3
	v_mul_hi_u32 v2, 0xaaaaaaab, v1
	s_wait_alu 0xfffe
	s_add_nc_u64 s[2:3], s[10:11], s[2:3]
	s_load_b64 s[0:1], s[0:1], 0x20
	s_load_b64 s[2:3], s[2:3], 0x0
	v_mul_hi_u32 v5, 0x3030304, v0
	s_delay_alu instid0(VALU_DEP_2) | instskip(NEXT) | instid1(VALU_DEP_1)
	v_lshrrev_b32_e32 v2, 1, v2
	v_lshl_add_u32 v6, v2, 1, v2
	s_delay_alu instid0(VALU_DEP_1)
	v_sub_nc_u32_e32 v1, v1, v6
	s_wait_kmcnt 0x0
	v_cmp_gt_u64_e32 vcc_lo, s[0:1], v[9:10]
	v_mul_lo_u32 v7, s2, v10
	v_mul_lo_u32 v8, s3, v9
	v_mad_co_u64_u32 v[2:3], null, s2, v9, v[3:4]
	v_mul_u32_u24_e32 v4, 0x55, v5
	v_mul_u32_u24_e32 v1, 0x551, v1
	s_delay_alu instid0(VALU_DEP_2) | instskip(NEXT) | instid1(VALU_DEP_4)
	v_sub_nc_u32_e32 v32, v0, v4
	v_add3_u32 v3, v8, v3, v7
	s_delay_alu instid0(VALU_DEP_3) | instskip(NEXT) | instid1(VALU_DEP_3)
	v_lshlrev_b32_e32 v51, 3, v1
	v_lshlrev_b32_e32 v49, 3, v32
	s_delay_alu instid0(VALU_DEP_3)
	v_lshlrev_b64_e32 v[34:35], 3, v[2:3]
	s_and_saveexec_b32 s1, vcc_lo
	s_cbranch_execz .LBB0_10
; %bb.9:
	v_mov_b32_e32 v33, 0
	s_delay_alu instid0(VALU_DEP_2) | instskip(SKIP_2) | instid1(VALU_DEP_3)
	v_add_co_u32 v2, s0, s8, v34
	s_wait_alu 0xf1ff
	v_add_co_ci_u32_e64 v3, s0, s9, v35, s0
	v_lshlrev_b64_e32 v[0:1], 3, v[32:33]
	v_add3_u32 v33, 0, v51, v49
	s_delay_alu instid0(VALU_DEP_1) | instskip(NEXT) | instid1(VALU_DEP_3)
	v_add_nc_u32_e32 v36, 0x800, v33
	v_add_co_u32 v0, s0, v2, v0
	s_wait_alu 0xf1ff
	s_delay_alu instid0(VALU_DEP_4)
	v_add_co_ci_u32_e64 v1, s0, v3, v1, s0
	v_add_nc_u32_e32 v37, 0xc00, v33
	v_add_nc_u32_e32 v38, 0x1000, v33
	s_clause 0xf
	global_load_b64 v[2:3], v[0:1], off
	global_load_b64 v[4:5], v[0:1], off offset:680
	global_load_b64 v[6:7], v[0:1], off offset:1360
	;; [unrolled: 1-line block ×15, first 2 shown]
	v_add_nc_u32_e32 v39, 0x1800, v33
	v_add_nc_u32_e32 v40, 0x1c00, v33
	;; [unrolled: 1-line block ×3, first 2 shown]
	s_wait_loadcnt 0xe
	ds_store_2addr_b64 v33, v[2:3], v[4:5] offset1:85
	s_wait_loadcnt 0xc
	ds_store_2addr_b64 v33, v[6:7], v[8:9] offset0:170 offset1:255
	s_wait_loadcnt 0xa
	ds_store_2addr_b64 v36, v[10:11], v[12:13] offset0:84 offset1:169
	;; [unrolled: 2-line block ×7, first 2 shown]
.LBB0_10:
	s_wait_alu 0xfffe
	s_or_b32 exec_lo, exec_lo, s1
	v_add3_u32 v50, 0, v49, v51
	global_wb scope:SCOPE_SE
	s_wait_dscnt 0x0
	s_barrier_signal -1
	s_barrier_wait -1
	global_inv scope:SCOPE_SE
	v_add_nc_u32_e32 v0, 0x2400, v50
	v_add_nc_u32_e32 v52, 0x2000, v50
	s_mov_b32 s1, exec_lo
	ds_load_2addr_b64 v[28:31], v50 offset0:80 offset1:160
	ds_load_2addr_b64 v[0:3], v0 offset0:48 offset1:128
	v_add_nc_u32_e32 v4, 0x400, v50
	v_add_nc_u32_e32 v33, 0, v51
	;; [unrolled: 1-line block ×3, first 2 shown]
	s_wait_dscnt 0x0
	v_dual_sub_f32 v86, v30, v0 :: v_dual_add_nc_u32 v55, 0x1800, v50
	v_add_f32_e32 v69, v1, v31
	ds_load_2addr_b64 v[24:27], v4 offset0:112 offset1:192
	ds_load_2addr_b64 v[4:7], v52 offset0:16 offset1:96
	v_add_f32_e32 v64, v3, v29
	v_dual_sub_f32 v85, v28, v2 :: v_dual_add_nc_u32 v48, v33, v49
	v_add_f32_e32 v68, v0, v30
	v_add_nc_u32_e32 v54, 0x800, v50
	v_dual_sub_f32 v46, v29, v3 :: v_dual_add_f32 v65, v2, v28
	s_delay_alu instid0(VALU_DEP_4)
	v_mul_f32_e32 v63, 0xbeb8f4ab, v85
	v_sub_f32_e32 v118, v31, v1
	v_mul_f32_e32 v106, 0xbf2c7751, v85
	v_mul_f32_e32 v108, 0xbf7ee86f, v86
	;; [unrolled: 1-line block ×3, first 2 shown]
	v_fma_f32 v37, 0x3f6eb680, v64, -v63
	v_add_nc_u32_e32 v8, 0x1400, v50
	s_delay_alu instid0(VALU_DEP_4) | instskip(NEXT) | instid1(VALU_DEP_4)
	v_fma_f32 v43, 0x3dbcf732, v69, -v108
	v_fma_f32 v39, 0x3f3d2fb0, v69, -v61
	s_wait_dscnt 0x0
	v_sub_f32_e32 v119, v25, v7
	ds_load_b64 v[40:41], v48
	ds_load_2addr_b64 v[20:23], v54 offset0:144 offset1:224
	ds_load_2addr_b64 v[16:19], v53 offset0:48 offset1:128
	;; [unrolled: 1-line block ×4, first 2 shown]
	v_add_f32_e32 v72, v7, v25
	v_dual_sub_f32 v120, v27, v5 :: v_dual_add_f32 v77, v5, v27
	v_dual_sub_f32 v90, v26, v4 :: v_dual_sub_f32 v87, v24, v6
	v_dual_add_f32 v71, v6, v24 :: v_dual_add_f32 v74, v4, v26
	v_mul_f32_e32 v57, 0xbf65296c, v119
	s_delay_alu instid0(VALU_DEP_4)
	v_mul_f32_e32 v96, 0xbe3c28d5, v120
	global_wb scope:SCOPE_SE
	s_wait_dscnt 0x0
	s_barrier_signal -1
	s_barrier_wait -1
	v_fmamk_f32 v42, v71, 0x3ee437d1, v57
	global_inv scope:SCOPE_SE
	v_mul_f32_e32 v95, 0xbf4c4adb, v119
	v_dual_add_f32 v37, v41, v37 :: v_dual_mul_f32 v56, 0xbeb8f4ab, v46
	v_mul_f32_e32 v99, 0xbf7ee86f, v118
	v_sub_f32_e32 v94, v16, v14
	v_add_f32_e32 v81, v8, v22
	s_delay_alu instid0(VALU_DEP_4) | instskip(SKIP_2) | instid1(VALU_DEP_3)
	v_dual_add_f32 v37, v39, v37 :: v_dual_mul_f32 v58, 0xbf2c7751, v118
	v_dual_fmamk_f32 v36, v65, 0x3f6eb680, v56 :: v_dual_sub_f32 v91, v20, v10
	v_dual_mul_f32 v59, 0xbf7ee86f, v120 :: v_dual_mul_f32 v62, 0xbf7ee86f, v90
	v_dual_fmamk_f32 v38, v68, 0x3f3d2fb0, v58 :: v_dual_sub_f32 v121, v21, v11
	s_delay_alu instid0(VALU_DEP_3) | instskip(NEXT) | instid1(VALU_DEP_3)
	v_dual_add_f32 v36, v40, v36 :: v_dual_add_f32 v79, v11, v21
	v_fma_f32 v39, 0x3dbcf732, v77, -v62
	v_mul_f32_e32 v60, 0xbf65296c, v87
	s_delay_alu instid0(VALU_DEP_3) | instskip(SKIP_2) | instid1(VALU_DEP_4)
	v_dual_mul_f32 v67, 0xbf763a35, v91 :: v_dual_add_f32 v36, v38, v36
	v_dual_sub_f32 v93, v22, v8 :: v_dual_add_f32 v82, v9, v23
	v_sub_f32_e32 v107, v18, v12
	v_fma_f32 v38, 0x3ee437d1, v72, -v60
	s_delay_alu instid0(VALU_DEP_3) | instskip(SKIP_1) | instid1(VALU_DEP_3)
	v_dual_add_f32 v36, v42, v36 :: v_dual_mul_f32 v73, 0xbf4c4adb, v93
	v_dual_add_f32 v78, v10, v20 :: v_dual_sub_f32 v123, v17, v15
	v_add_f32_e32 v37, v38, v37
	v_dual_mul_f32 v66, 0xbf763a35, v121 :: v_dual_add_f32 v83, v14, v16
	v_add_f32_e32 v84, v15, v17
	s_delay_alu instid0(VALU_DEP_3) | instskip(SKIP_4) | instid1(VALU_DEP_4)
	v_dual_mul_f32 v76, 0xbf06c442, v94 :: v_dual_add_f32 v37, v39, v37
	v_fma_f32 v39, 0xbe8c1d8e, v79, -v67
	v_fmamk_f32 v38, v74, 0x3dbcf732, v59
	v_dual_sub_f32 v122, v23, v9 :: v_dual_mul_f32 v75, 0xbf06c442, v123
	v_add_f32_e32 v89, v12, v18
	v_add_f32_e32 v37, v39, v37
	v_fma_f32 v39, 0xbf1a4643, v82, -v73
	v_add_f32_e32 v36, v38, v36
	v_fmamk_f32 v38, v78, 0xbe8c1d8e, v66
	v_mul_f32_e32 v110, 0xbe3c28d5, v90
	v_dual_sub_f32 v124, v19, v13 :: v_dual_mul_f32 v111, 0x3f06c442, v91
	v_add_f32_e32 v37, v39, v37
	v_fma_f32 v39, 0xbf59a7d5, v84, -v76
	v_mul_f32_e32 v70, 0xbf4c4adb, v122
	v_dual_add_f32 v36, v38, v36 :: v_dual_mul_f32 v109, 0xbf4c4adb, v87
	v_dual_mul_f32 v105, 0x3f763a35, v93 :: v_dual_add_f32 v102, v13, v19
	s_delay_alu instid0(VALU_DEP_4)
	v_add_f32_e32 v37, v39, v37
	v_fma_f32 v39, 0x3f3d2fb0, v64, -v106
	v_mul_f32_e32 v88, 0xbe3c28d5, v107
	v_mul_f32_e32 v103, 0x3eb8f4ab, v107
	;; [unrolled: 1-line block ×4, first 2 shown]
	v_add_f32_e32 v39, v41, v39
	v_fmamk_f32 v38, v81, 0xbf1a4643, v70
	v_mul_f32_e32 v104, 0x3f65296c, v94
	v_fma_f32 v45, 0xbf7ba420, v102, -v88
	v_fma_f32 v112, 0x3f6eb680, v102, -v103
	s_delay_alu instid0(VALU_DEP_4)
	v_dual_add_f32 v39, v43, v39 :: v_dual_add_f32 v36, v38, v36
	v_fma_f32 v43, 0xbf1a4643, v72, -v109
	v_fmamk_f32 v38, v83, 0xbf59a7d5, v75
	v_mul_f32_e32 v80, 0xbe3c28d5, v124
	v_mul_f32_e32 v97, 0x3f763a35, v122
	;; [unrolled: 1-line block ×3, first 2 shown]
	v_add_f32_e32 v39, v43, v39
	v_fma_f32 v43, 0xbf7ba420, v77, -v110
	v_mul_f32_e32 v92, 0xbf2c7751, v46
	v_fmamk_f32 v44, v89, 0xbf7ba420, v80
	v_fmamk_f32 v47, v89, 0x3f6eb680, v101
	s_delay_alu instid0(VALU_DEP_4) | instskip(SKIP_1) | instid1(VALU_DEP_1)
	v_add_f32_e32 v39, v43, v39
	v_fma_f32 v43, 0xbf59a7d5, v79, -v111
	v_add_f32_e32 v39, v43, v39
	v_fma_f32 v43, 0xbe8c1d8e, v82, -v105
	s_delay_alu instid0(VALU_DEP_1) | instskip(SKIP_1) | instid1(VALU_DEP_1)
	v_add_f32_e32 v39, v43, v39
	v_fma_f32 v43, 0x3ee437d1, v84, -v104
	v_dual_fmamk_f32 v42, v68, 0x3dbcf732, v99 :: v_dual_add_f32 v43, v43, v39
	v_dual_add_f32 v39, v45, v37 :: v_dual_add_f32 v36, v38, v36
	s_delay_alu instid0(VALU_DEP_2) | instskip(NEXT) | instid1(VALU_DEP_1)
	v_dual_fmamk_f32 v38, v65, 0x3f3d2fb0, v92 :: v_dual_add_f32 v37, v112, v43
	v_add_f32_e32 v38, v40, v38
	s_delay_alu instid0(VALU_DEP_1) | instskip(SKIP_1) | instid1(VALU_DEP_1)
	v_add_f32_e32 v38, v42, v38
	v_fmamk_f32 v42, v71, 0xbf1a4643, v95
	v_add_f32_e32 v38, v42, v38
	v_fmamk_f32 v42, v74, 0xbf7ba420, v96
	s_delay_alu instid0(VALU_DEP_1) | instskip(SKIP_1) | instid1(VALU_DEP_1)
	v_add_f32_e32 v38, v42, v38
	v_fmamk_f32 v42, v78, 0xbf59a7d5, v98
	v_add_f32_e32 v38, v42, v38
	v_fmamk_f32 v42, v81, 0xbe8c1d8e, v97
	s_delay_alu instid0(VALU_DEP_1) | instskip(SKIP_1) | instid1(VALU_DEP_1)
	v_add_f32_e32 v38, v42, v38
	v_fmamk_f32 v42, v83, 0x3ee437d1, v100
	v_add_f32_e32 v42, v42, v38
	v_add_f32_e32 v38, v44, v36
	s_delay_alu instid0(VALU_DEP_2)
	v_add_f32_e32 v36, v47, v42
	v_cmpx_gt_u32_e32 0x50, v32
	s_cbranch_execz .LBB0_12
; %bb.11:
	v_mul_f32_e32 v117, 0x3ee437d1, v64
	v_dual_mul_f32 v113, 0xbf65296c, v46 :: v_dual_add_f32 v28, v40, v28
	v_dual_mul_f32 v112, 0xbf4c4adb, v118 :: v_dual_add_f32 v29, v41, v29
	v_mul_f32_e32 v116, 0xbf1a4643, v69
	s_delay_alu instid0(VALU_DEP_4) | instskip(NEXT) | instid1(VALU_DEP_4)
	v_fmamk_f32 v42, v85, 0x3f65296c, v117
	v_dual_fmamk_f32 v43, v65, 0x3ee437d1, v113 :: v_dual_add_f32 v126, v28, v30
	v_mul_f32_e32 v114, 0xbe8c1d8e, v77
	v_fmamk_f32 v45, v68, 0xbf1a4643, v112
	v_dual_fmamk_f32 v44, v86, 0x3f4c4adb, v116 :: v_dual_add_f32 v125, v29, v31
	s_delay_alu instid0(VALU_DEP_4) | instskip(SKIP_2) | instid1(VALU_DEP_3)
	v_dual_add_f32 v42, v41, v42 :: v_dual_add_f32 v43, v40, v43
	v_mul_f32_e32 v115, 0xbf7ba420, v72
	v_mul_f32_e32 v129, 0x3e3c28d5, v119
	v_dual_mul_f32 v130, 0x3f763a35, v120 :: v_dual_add_f32 v31, v44, v42
	s_delay_alu instid0(VALU_DEP_3) | instskip(NEXT) | instid1(VALU_DEP_3)
	v_dual_add_f32 v42, v45, v43 :: v_dual_fmamk_f32 v29, v87, 0xbe3c28d5, v115
	v_dual_fmamk_f32 v43, v71, 0xbf7ba420, v129 :: v_dual_mul_f32 v152, 0xbf7ba420, v69
	v_fmamk_f32 v44, v90, 0xbf763a35, v114
	v_mul_f32_e32 v127, 0xbf59a7d5, v102
	s_delay_alu instid0(VALU_DEP_4) | instskip(NEXT) | instid1(VALU_DEP_4)
	v_add_f32_e32 v29, v29, v31
	v_dual_add_f32 v31, v43, v42 :: v_dual_fmamk_f32 v42, v74, 0xbe8c1d8e, v130
	v_mul_f32_e32 v132, 0x3f2c7751, v121
	v_mul_f32_e32 v145, 0xbf7ee86f, v46
	s_delay_alu instid0(VALU_DEP_4)
	v_add_f32_e32 v29, v44, v29
	v_mul_f32_e32 v143, 0x3dbcf732, v64
	v_add_f32_e32 v31, v42, v31
	v_dual_mul_f32 v135, 0x3f3d2fb0, v79 :: v_dual_fmamk_f32 v42, v78, 0x3f3d2fb0, v132
	v_mul_f32_e32 v134, 0x3dbcf732, v84
	v_mul_f32_e32 v150, 0xbe8c1d8e, v72
	;; [unrolled: 1-line block ×3, first 2 shown]
	s_delay_alu instid0(VALU_DEP_4) | instskip(SKIP_2) | instid1(VALU_DEP_3)
	v_fmamk_f32 v43, v91, 0xbf2c7751, v135
	v_dual_mul_f32 v136, 0x3f6eb680, v82 :: v_dual_add_f32 v31, v42, v31
	v_mul_f32_e32 v128, 0xbf06c442, v124
	v_dual_fmamk_f32 v196, v68, 0x3ee437d1, v194 :: v_dual_add_f32 v29, v43, v29
	s_delay_alu instid0(VALU_DEP_3)
	v_fmamk_f32 v43, v93, 0x3eb8f4ab, v136
	v_mul_f32_e32 v190, 0xbf06c442, v46
	v_mul_f32_e32 v186, 0xbf59a7d5, v64
	;; [unrolled: 1-line block ×4, first 2 shown]
	v_add_f32_e32 v29, v43, v29
	v_fmamk_f32 v43, v94, 0x3f7ee86f, v134
	v_mul_f32_e32 v146, 0xbe3c28d5, v118
	v_fmamk_f32 v193, v65, 0xbf59a7d5, v190
	v_mul_f32_e32 v178, 0xbf06c442, v120
	s_delay_alu instid0(VALU_DEP_4)
	v_dual_fmamk_f32 v45, v94, 0xbf4c4adb, v147 :: v_dual_add_f32 v28, v43, v29
	v_fmamk_f32 v29, v107, 0x3f06c442, v127
	v_fmamk_f32 v43, v86, 0x3e3c28d5, v152
	v_add_f32_e32 v193, v40, v193
	v_mul_f32_e32 v177, 0xbf59a7d5, v77
	v_mul_f32_e32 v151, 0x3f6eb680, v77
	v_add_f32_e32 v29, v29, v28
	v_fmamk_f32 v28, v85, 0x3f7ee86f, v143
	v_mul_f32_e32 v158, 0x3f06c442, v118
	v_mul_f32_e32 v156, 0xbf763a35, v46
	;; [unrolled: 1-line block ×3, first 2 shown]
	s_delay_alu instid0(VALU_DEP_4)
	v_dual_mul_f32 v161, 0x3ee437d1, v77 :: v_dual_add_f32 v28, v41, v28
	v_mul_f32_e32 v133, 0xbeb8f4ab, v122
	v_fmamk_f32 v47, v68, 0xbf59a7d5, v158
	v_mul_f32_e32 v157, 0xbf59a7d5, v69
	v_mul_f32_e32 v140, 0xbf06c442, v122
	v_add_f32_e32 v28, v43, v28
	v_fmamk_f32 v42, v81, 0x3f6eb680, v133
	v_fmamk_f32 v43, v87, 0xbf763a35, v150
	v_mul_f32_e32 v165, 0x3dbcf732, v82
	v_mul_f32_e32 v176, 0xbeb8f4ab, v119
	;; [unrolled: 1-line block ×4, first 2 shown]
	v_dual_add_f32 v28, v43, v28 :: v_dual_fmamk_f32 v43, v90, 0xbeb8f4ab, v151
	v_mul_f32_e32 v160, 0x3f2c7751, v119
	s_delay_alu instid0(VALU_DEP_4)
	v_fmamk_f32 v153, v94, 0x3eb8f4ab, v167
	v_mul_f32_e32 v162, 0xbf65296c, v120
	v_mul_f32_e32 v164, 0xbe3c28d5, v121
	v_dual_add_f32 v28, v43, v28 :: v_dual_mul_f32 v141, 0xbf65296c, v121
	v_mul_f32_e32 v149, 0x3ee437d1, v79
	v_mul_f32_e32 v166, 0x3f7ee86f, v122
	;; [unrolled: 1-line block ×5, first 2 shown]
	v_fmamk_f32 v43, v91, 0x3f65296c, v149
	v_dual_mul_f32 v171, 0xbf4c4adb, v124 :: v_dual_mul_f32 v172, 0xbf4c4adb, v46
	v_fmamk_f32 v214, v94, 0x3f763a35, v213
	s_delay_alu instid0(VALU_DEP_3) | instskip(SKIP_4) | instid1(VALU_DEP_3)
	v_dual_mul_f32 v197, 0xbf7ee86f, v119 :: v_dual_add_f32 v28, v43, v28
	v_fmamk_f32 v44, v68, 0xbf7ba420, v146
	v_mul_f32_e32 v131, 0xbf7ee86f, v123
	v_add_f32_e32 v31, v42, v31
	v_dual_mul_f32 v195, 0x3f6eb680, v79 :: v_dual_mul_f32 v204, 0x3f6eb680, v69
	v_dual_add_f32 v193, v196, v193 :: v_dual_fmamk_f32 v42, v83, 0x3dbcf732, v131
	v_mul_f32_e32 v199, 0x3f4c4adb, v120
	v_mul_f32_e32 v182, 0xbf2c7751, v122
	s_delay_alu instid0(VALU_DEP_4) | instskip(NEXT) | instid1(VALU_DEP_4)
	v_fmamk_f32 v206, v86, 0xbeb8f4ab, v204
	v_dual_fmamk_f32 v187, v85, 0x3f06c442, v186 :: v_dual_add_f32 v30, v42, v31
	v_fmamk_f32 v31, v89, 0xbf59a7d5, v128
	v_fmamk_f32 v43, v93, 0x3f06c442, v148
	;; [unrolled: 1-line block ×3, first 2 shown]
	v_mul_f32_e32 v174, 0x3f763a35, v118
	v_mul_f32_e32 v181, 0x3f3d2fb0, v82
	v_dual_mul_f32 v169, 0xbf1a4643, v102 :: v_dual_mul_f32 v170, 0xbf1a4643, v64
	v_add_f32_e32 v43, v43, v28
	v_mul_f32_e32 v137, 0x3f3d2fb0, v102
	v_add_f32_e32 v28, v31, v30
	v_add_f32_e32 v42, v40, v42
	v_fmamk_f32 v154, v68, 0xbe8c1d8e, v174
	v_dual_add_f32 v30, v45, v43 :: v_dual_fmamk_f32 v45, v86, 0xbf06c442, v157
	s_delay_alu instid0(VALU_DEP_3) | instskip(SKIP_3) | instid1(VALU_DEP_4)
	v_dual_fmamk_f32 v31, v107, 0xbf2c7751, v137 :: v_dual_add_f32 v42, v44, v42
	v_fmamk_f32 v183, v93, 0x3f2c7751, v181
	v_mul_f32_e32 v202, 0xbeb8f4ab, v121
	v_mul_f32_e32 v175, 0x3f6eb680, v72
	v_dual_add_f32 v31, v31, v30 :: v_dual_fmamk_f32 v30, v85, 0x3f763a35, v155
	v_mul_f32_e32 v189, 0x3dbcf732, v72
	v_mul_f32_e32 v180, 0x3f7ee86f, v121
	v_mul_f32_e32 v179, 0x3dbcf732, v79
	s_delay_alu instid0(VALU_DEP_4)
	v_dual_mul_f32 v185, 0xbe3c28d5, v123 :: v_dual_add_f32 v30, v41, v30
	v_mul_f32_e32 v184, 0xbf7ba420, v84
	v_mul_f32_e32 v191, 0xbf1a4643, v77
	;; [unrolled: 1-line block ×4, first 2 shown]
	v_dual_add_f32 v30, v45, v30 :: v_dual_mul_f32 v159, 0x3f3d2fb0, v72
	v_dual_mul_f32 v211, 0xbf06c442, v119 :: v_dual_fmac_f32 v186, 0xbf06c442, v85
	s_delay_alu instid0(VALU_DEP_3) | instskip(SKIP_1) | instid1(VALU_DEP_4)
	v_fmamk_f32 v210, v68, 0x3f6eb680, v209
	v_mul_f32_e32 v207, 0xbf59a7d5, v72
	v_fmamk_f32 v45, v87, 0xbf2c7751, v159
	v_fmac_f32_e32 v204, 0x3eb8f4ab, v86
	v_fmac_f32_e32 v143, 0xbf7ee86f, v85
	v_fma_f32 v113, 0x3ee437d1, v65, -v113
	s_delay_alu instid0(VALU_DEP_4)
	v_dual_mul_f32 v173, 0xbe8c1d8e, v69 :: v_dual_add_f32 v30, v45, v30
	v_fmamk_f32 v45, v90, 0x3f65296c, v161
	v_fmac_f32_e32 v135, 0x3f2c7751, v91
	v_fma_f32 v112, 0xbf1a4643, v68, -v112
	v_fma_f32 v145, 0x3dbcf732, v65, -v145
	v_fmac_f32_e32 v151, 0x3eb8f4ab, v90
	v_dual_add_f32 v30, v45, v30 :: v_dual_mul_f32 v163, 0xbf7ba420, v79
	v_fmac_f32_e32 v117, 0xbf65296c, v85
	v_fmac_f32_e32 v115, 0x3e3c28d5, v87
	;; [unrolled: 1-line block ×3, first 2 shown]
	v_add_f32_e32 v25, v125, v25
	v_fmamk_f32 v45, v91, 0x3e3c28d5, v163
	v_fmamk_f32 v196, v71, 0x3dbcf732, v197
	v_fmac_f32_e32 v152, 0xbe3c28d5, v86
	v_fmac_f32_e32 v150, 0x3f763a35, v87
	;; [unrolled: 1-line block ×3, first 2 shown]
	v_add_f32_e32 v30, v45, v30
	v_fmamk_f32 v45, v93, 0xbf7ee86f, v165
	v_dual_mul_f32 v144, 0x3f763a35, v119 :: v_dual_add_f32 v193, v196, v193
	v_fmamk_f32 v196, v74, 0xbf1a4643, v199
	v_mul_f32_e32 v198, 0xbf7ba420, v82
	s_delay_alu instid0(VALU_DEP_3) | instskip(SKIP_1) | instid1(VALU_DEP_4)
	v_dual_add_f32 v45, v45, v30 :: v_dual_fmamk_f32 v44, v71, 0xbe8c1d8e, v144
	v_add_f32_e32 v25, v25, v27
	v_dual_add_f32 v193, v196, v193 :: v_dual_fmamk_f32 v196, v78, 0x3f6eb680, v202
	s_delay_alu instid0(VALU_DEP_4) | instskip(NEXT) | instid1(VALU_DEP_4)
	v_fmamk_f32 v200, v93, 0x3e3c28d5, v198
	v_add_f32_e32 v42, v44, v42
	s_delay_alu instid0(VALU_DEP_4) | instskip(SKIP_3) | instid1(VALU_DEP_4)
	v_dual_fmamk_f32 v44, v74, 0x3f6eb680, v142 :: v_dual_add_f32 v21, v25, v21
	v_fmac_f32_e32 v148, 0xbf06c442, v93
	v_fmac_f32_e32 v114, 0x3f763a35, v90
	;; [unrolled: 1-line block ×3, first 2 shown]
	v_add_f32_e32 v42, v44, v42
	v_fmamk_f32 v44, v78, 0x3ee437d1, v141
	v_fmac_f32_e32 v149, 0xbf65296c, v91
	v_dual_fmac_f32 v136, 0xbeb8f4ab, v93 :: v_dual_add_f32 v21, v21, v23
	v_add_f32_e32 v24, v126, v24
	s_delay_alu instid0(VALU_DEP_4) | instskip(SKIP_1) | instid1(VALU_DEP_3)
	v_add_f32_e32 v42, v44, v42
	v_fmamk_f32 v44, v81, 0xbf59a7d5, v140
	v_dual_add_f32 v17, v21, v17 :: v_dual_add_f32 v26, v24, v26
	s_delay_alu instid0(VALU_DEP_2) | instskip(SKIP_2) | instid1(VALU_DEP_4)
	v_add_f32_e32 v42, v44, v42
	v_fmamk_f32 v44, v83, 0xbf1a4643, v139
	v_fmac_f32_e32 v147, 0x3f4c4adb, v94
	v_dual_add_f32 v17, v17, v19 :: v_dual_add_f32 v20, v26, v20
	s_delay_alu instid0(VALU_DEP_3) | instskip(SKIP_1) | instid1(VALU_DEP_3)
	v_add_f32_e32 v42, v44, v42
	v_fmamk_f32 v44, v65, 0xbe8c1d8e, v156
	v_dual_add_f32 v13, v17, v13 :: v_dual_add_f32 v20, v20, v22
	s_delay_alu instid0(VALU_DEP_1) | instskip(NEXT) | instid1(VALU_DEP_2)
	v_dual_add_f32 v44, v40, v44 :: v_dual_add_f32 v13, v13, v15
	v_add_f32_e32 v16, v20, v16
	s_delay_alu instid0(VALU_DEP_2) | instskip(SKIP_1) | instid1(VALU_DEP_3)
	v_add_f32_e32 v44, v47, v44
	v_fmamk_f32 v47, v71, 0x3f3d2fb0, v160
	v_dual_add_f32 v9, v13, v9 :: v_dual_add_f32 v16, v16, v18
	s_delay_alu instid0(VALU_DEP_2) | instskip(NEXT) | instid1(VALU_DEP_2)
	v_dual_add_f32 v44, v47, v44 :: v_dual_fmamk_f32 v47, v74, 0x3ee437d1, v162
	v_dual_add_f32 v9, v9, v11 :: v_dual_add_f32 v12, v16, v12
	s_delay_alu instid0(VALU_DEP_2) | instskip(NEXT) | instid1(VALU_DEP_2)
	v_dual_add_f32 v44, v47, v44 :: v_dual_fmamk_f32 v47, v78, 0xbf7ba420, v164
	;; [unrolled: 3-line block ×3, first 2 shown]
	v_dual_add_f32 v5, v5, v7 :: v_dual_add_f32 v8, v12, v8
	s_delay_alu instid0(VALU_DEP_2) | instskip(SKIP_1) | instid1(VALU_DEP_3)
	v_add_f32_e32 v44, v47, v44
	v_fmamk_f32 v47, v83, 0x3f6eb680, v168
	v_dual_add_f32 v5, v5, v1 :: v_dual_add_f32 v8, v8, v10
	s_delay_alu instid0(VALU_DEP_2) | instskip(NEXT) | instid1(VALU_DEP_2)
	v_dual_add_f32 v44, v47, v44 :: v_dual_fmamk_f32 v47, v65, 0xbf1a4643, v172
	v_dual_add_f32 v3, v5, v3 :: v_dual_add_f32 v4, v8, v4
	s_delay_alu instid0(VALU_DEP_2) | instskip(NEXT) | instid1(VALU_DEP_1)
	v_dual_add_f32 v47, v40, v47 :: v_dual_mul_f32 v138, 0x3f2c7751, v124
	v_dual_add_f32 v4, v4, v6 :: v_dual_add_f32 v47, v154, v47
	s_delay_alu instid0(VALU_DEP_1) | instskip(NEXT) | instid1(VALU_DEP_1)
	v_dual_fmamk_f32 v43, v89, 0x3f3d2fb0, v138 :: v_dual_add_f32 v4, v4, v0
	v_add_f32_e32 v30, v43, v42
	v_dual_add_f32 v42, v153, v45 :: v_dual_fmamk_f32 v43, v107, 0x3f4c4adb, v169
	v_fmamk_f32 v153, v86, 0xbf763a35, v173
	v_fmamk_f32 v45, v89, 0xbf1a4643, v171
	v_fmac_f32_e32 v169, 0xbf4c4adb, v107
	v_fmac_f32_e32 v173, 0x3f763a35, v86
	v_dual_add_f32 v43, v43, v42 :: v_dual_fmamk_f32 v42, v85, 0x3f4c4adb, v170
	v_fmac_f32_e32 v170, 0xbf4c4adb, v85
	v_add_f32_e32 v2, v4, v2
	s_delay_alu instid0(VALU_DEP_3) | instskip(NEXT) | instid1(VALU_DEP_1)
	v_add_f32_e32 v42, v41, v42
	v_dual_add_f32 v42, v153, v42 :: v_dual_fmamk_f32 v153, v87, 0x3eb8f4ab, v175
	s_delay_alu instid0(VALU_DEP_1) | instskip(NEXT) | instid1(VALU_DEP_1)
	v_dual_add_f32 v42, v153, v42 :: v_dual_fmamk_f32 v153, v90, 0x3f06c442, v177
	v_dual_add_f32 v42, v153, v42 :: v_dual_fmamk_f32 v153, v91, 0xbf7ee86f, v179
	s_delay_alu instid0(VALU_DEP_1) | instskip(SKIP_1) | instid1(VALU_DEP_2)
	v_add_f32_e32 v153, v153, v42
	v_add_f32_e32 v42, v45, v44
	;; [unrolled: 1-line block ×3, first 2 shown]
	v_fmamk_f32 v183, v83, 0xbf7ba420, v185
	v_fmamk_f32 v45, v94, 0x3e3c28d5, v184
	v_mul_f32_e32 v153, 0x3f65296c, v124
	v_dual_add_f32 v143, v41, v143 :: v_dual_fmac_f32 v184, 0xbe3c28d5, v94
	s_delay_alu instid0(VALU_DEP_3) | instskip(SKIP_1) | instid1(VALU_DEP_3)
	v_add_f32_e32 v44, v45, v44
	v_dual_mul_f32 v188, 0x3ee437d1, v69 :: v_dual_add_f32 v45, v41, v187
	v_add_f32_e32 v143, v152, v143
	s_delay_alu instid0(VALU_DEP_2) | instskip(NEXT) | instid1(VALU_DEP_1)
	v_fmamk_f32 v187, v86, 0xbf65296c, v188
	v_add_f32_e32 v45, v187, v45
	v_fmamk_f32 v187, v87, 0x3f7ee86f, v189
	s_delay_alu instid0(VALU_DEP_1) | instskip(SKIP_3) | instid1(VALU_DEP_3)
	v_add_f32_e32 v45, v187, v45
	v_fmamk_f32 v154, v71, 0x3f6eb680, v176
	v_fmamk_f32 v187, v90, 0xbf4c4adb, v191
	v_fmac_f32_e32 v167, 0xbeb8f4ab, v94
	v_add_f32_e32 v47, v154, v47
	s_delay_alu instid0(VALU_DEP_3) | instskip(SKIP_2) | instid1(VALU_DEP_3)
	v_dual_fmamk_f32 v154, v74, 0xbf59a7d5, v178 :: v_dual_add_f32 v45, v187, v45
	v_fmamk_f32 v187, v91, 0x3eb8f4ab, v195
	v_fmac_f32_e32 v195, 0xbeb8f4ab, v91
	v_add_f32_e32 v47, v154, v47
	s_delay_alu instid0(VALU_DEP_3) | instskip(SKIP_2) | instid1(VALU_DEP_3)
	v_dual_fmamk_f32 v154, v78, 0x3dbcf732, v180 :: v_dual_add_f32 v187, v187, v45
	v_fmamk_f32 v192, v89, 0x3ee437d1, v153
	v_fmac_f32_e32 v179, 0x3f7ee86f, v91
	v_dual_add_f32 v47, v154, v47 :: v_dual_fmamk_f32 v154, v81, 0x3f3d2fb0, v182
	s_delay_alu instid0(VALU_DEP_1) | instskip(NEXT) | instid1(VALU_DEP_1)
	v_dual_add_f32 v47, v154, v47 :: v_dual_mul_f32 v154, 0x3ee437d1, v102
	v_add_f32_e32 v47, v183, v47
	s_delay_alu instid0(VALU_DEP_2) | instskip(NEXT) | instid1(VALU_DEP_1)
	v_fmamk_f32 v183, v107, 0xbf65296c, v154
	v_dual_fmac_f32 v154, 0x3f65296c, v107 :: v_dual_add_f32 v45, v183, v44
	v_add_f32_e32 v183, v200, v187
	v_fmamk_f32 v187, v94, 0xbf2c7751, v201
	v_mul_f32_e32 v200, 0xbe3c28d5, v122
	v_add_f32_e32 v44, v192, v47
	s_delay_alu instid0(VALU_DEP_3) | instskip(NEXT) | instid1(VALU_DEP_3)
	v_add_f32_e32 v47, v187, v183
	v_dual_mul_f32 v183, 0xbf7ba420, v64 :: v_dual_fmamk_f32 v192, v81, 0xbf7ba420, v200
	v_add_f32_e32 v187, v196, v193
	v_mul_f32_e32 v193, 0x3f2c7751, v123
	s_delay_alu instid0(VALU_DEP_3) | instskip(NEXT) | instid1(VALU_DEP_3)
	v_fmamk_f32 v203, v85, 0x3e3c28d5, v183
	v_dual_mul_f32 v196, 0xbe8c1d8e, v102 :: v_dual_add_f32 v187, v192, v187
	s_delay_alu instid0(VALU_DEP_3) | instskip(SKIP_1) | instid1(VALU_DEP_4)
	v_fmamk_f32 v192, v83, 0x3f3d2fb0, v193
	v_fmac_f32_e32 v183, 0xbe3c28d5, v85
	v_add_f32_e32 v203, v41, v203
	v_fmac_f32_e32 v155, 0xbf763a35, v85
	v_add_f32_e32 v85, v40, v145
	v_dual_add_f32 v187, v192, v187 :: v_dual_mul_f32 v192, 0xbe3c28d5, v46
	s_delay_alu instid0(VALU_DEP_4) | instskip(SKIP_1) | instid1(VALU_DEP_3)
	v_add_f32_e32 v46, v206, v203
	v_fma_f32 v145, 0xbf7ba420, v68, -v146
	v_fmamk_f32 v208, v65, 0xbf7ba420, v192
	s_delay_alu instid0(VALU_DEP_1) | instskip(NEXT) | instid1(VALU_DEP_1)
	v_dual_add_f32 v85, v145, v85 :: v_dual_add_f32 v208, v40, v208
	v_dual_add_f32 v119, v210, v208 :: v_dual_fmamk_f32 v208, v71, 0xbf59a7d5, v211
	v_mul_f32_e32 v206, 0xbf763a35, v124
	v_fmamk_f32 v203, v87, 0x3f06c442, v207
	s_delay_alu instid0(VALU_DEP_3) | instskip(SKIP_1) | instid1(VALU_DEP_4)
	v_dual_mul_f32 v210, 0x3f2c7751, v120 :: v_dual_add_f32 v119, v208, v119
	v_mul_f32_e32 v208, 0xbf4c4adb, v121
	v_fmamk_f32 v121, v89, 0xbe8c1d8e, v206
	v_fmamk_f32 v205, v107, 0x3f763a35, v196
	v_dual_add_f32 v46, v203, v46 :: v_dual_mul_f32 v203, 0xbf1a4643, v79
	v_fmamk_f32 v120, v74, 0x3f3d2fb0, v210
	v_fmac_f32_e32 v196, 0xbf763a35, v107
	s_delay_alu instid0(VALU_DEP_4) | instskip(SKIP_3) | instid1(VALU_DEP_3)
	v_add_f32_e32 v47, v205, v47
	v_mul_f32_e32 v205, 0x3f3d2fb0, v77
	v_dual_fmac_f32 v198, 0xbe3c28d5, v93 :: v_dual_add_f32 v155, v41, v155
	v_dual_add_f32 v119, v120, v119 :: v_dual_fmamk_f32 v120, v78, 0xbf1a4643, v208
	v_fmamk_f32 v118, v90, 0xbf2c7751, v205
	v_mul_f32_e32 v212, 0x3ee437d1, v82
	v_fmac_f32_e32 v191, 0x3f4c4adb, v90
	v_fmac_f32_e32 v205, 0x3f2c7751, v90
	s_delay_alu instid0(VALU_DEP_4) | instskip(SKIP_3) | instid1(VALU_DEP_3)
	v_dual_add_f32 v119, v120, v119 :: v_dual_add_f32 v46, v118, v46
	v_fmamk_f32 v118, v91, 0x3f4c4adb, v203
	v_fma_f32 v120, 0xbf59a7d5, v65, -v190
	v_fmac_f32_e32 v188, 0x3f65296c, v86
	v_add_f32_e32 v46, v118, v46
	v_fmamk_f32 v118, v93, 0xbf65296c, v212
	s_delay_alu instid0(VALU_DEP_4) | instskip(SKIP_1) | instid1(VALU_DEP_3)
	v_dual_add_f32 v120, v40, v120 :: v_dual_fmac_f32 v189, 0xbf7ee86f, v87
	v_fmac_f32_e32 v212, 0x3f65296c, v93
	v_add_f32_e32 v118, v118, v46
	v_dual_add_f32 v46, v121, v187 :: v_dual_mul_f32 v187, 0x3f65296c, v122
	v_dual_add_f32 v121, v41, v186 :: v_dual_mul_f32 v186, 0xbf763a35, v123
	v_fma_f32 v123, 0x3ee437d1, v68, -v194
	s_delay_alu instid0(VALU_DEP_1) | instskip(NEXT) | instid1(VALU_DEP_4)
	v_add_f32_e32 v120, v123, v120
	v_fmamk_f32 v122, v81, 0x3ee437d1, v187
	s_delay_alu instid0(VALU_DEP_1) | instskip(SKIP_1) | instid1(VALU_DEP_1)
	v_add_f32_e32 v119, v122, v119
	v_add_f32_e32 v121, v188, v121
	v_dual_add_f32 v121, v189, v121 :: v_dual_add_f32 v118, v214, v118
	v_fma_f32 v123, 0x3dbcf732, v71, -v197
	v_fma_f32 v189, 0x3f6eb680, v78, -v202
	s_delay_alu instid0(VALU_DEP_3) | instskip(SKIP_4) | instid1(VALU_DEP_4)
	v_add_f32_e32 v121, v191, v121
	v_fmamk_f32 v122, v83, 0xbe8c1d8e, v186
	v_mul_f32_e32 v188, 0x3dbcf732, v102
	v_fmac_f32_e32 v213, 0xbf763a35, v94
	v_fmac_f32_e32 v207, 0xbf06c442, v87
	v_dual_add_f32 v121, v195, v121 :: v_dual_add_f32 v122, v122, v119
	v_add_f32_e32 v119, v123, v120
	v_fma_f32 v120, 0xbf1a4643, v74, -v199
	v_fmamk_f32 v123, v107, 0xbf7ee86f, v188
	s_delay_alu instid0(VALU_DEP_4) | instskip(SKIP_1) | instid1(VALU_DEP_3)
	v_dual_mul_f32 v124, 0x3f7ee86f, v124 :: v_dual_add_f32 v121, v198, v121
	v_fmac_f32_e32 v188, 0x3f7ee86f, v107
	v_dual_add_f32 v120, v120, v119 :: v_dual_add_f32 v119, v123, v118
	s_delay_alu instid0(VALU_DEP_3) | instskip(SKIP_1) | instid1(VALU_DEP_3)
	v_fmamk_f32 v118, v89, 0x3dbcf732, v124
	v_fma_f32 v123, 0xbf7ba420, v81, -v200
	v_add_f32_e32 v120, v189, v120
	s_delay_alu instid0(VALU_DEP_3) | instskip(SKIP_1) | instid1(VALU_DEP_3)
	v_add_f32_e32 v118, v118, v122
	v_fma_f32 v122, 0x3f3d2fb0, v83, -v193
	v_add_f32_e32 v120, v123, v120
	v_fma_f32 v123, 0xbe8c1d8e, v65, -v156
	v_fma_f32 v156, 0xbe8c1d8e, v89, -v206
	s_delay_alu instid0(VALU_DEP_3) | instskip(NEXT) | instid1(VALU_DEP_3)
	v_add_f32_e32 v120, v122, v120
	v_add_f32_e32 v122, v40, v123
	v_fma_f32 v123, 0xbf59a7d5, v68, -v158
	v_fma_f32 v158, 0x3f6eb680, v68, -v209
	s_delay_alu instid0(VALU_DEP_4) | instskip(SKIP_1) | instid1(VALU_DEP_4)
	v_add_f32_e32 v120, v156, v120
	v_dual_add_f32 v156, v41, v183 :: v_dual_fmac_f32 v201, 0x3f2c7751, v94
	v_add_f32_e32 v122, v123, v122
	v_fma_f32 v123, 0x3f3d2fb0, v71, -v160
	v_fma_f32 v160, 0xbe8c1d8e, v68, -v174
	s_delay_alu instid0(VALU_DEP_4) | instskip(SKIP_1) | instid1(VALU_DEP_4)
	v_dual_add_f32 v156, v204, v156 :: v_dual_add_f32 v121, v201, v121
	v_fmac_f32_e32 v157, 0x3f06c442, v86
	v_add_f32_e32 v122, v123, v122
	v_fma_f32 v123, 0x3ee437d1, v74, -v162
	s_delay_alu instid0(VALU_DEP_4) | instskip(NEXT) | instid1(VALU_DEP_4)
	v_dual_add_f32 v156, v207, v156 :: v_dual_fmac_f32 v203, 0xbf4c4adb, v91
	v_add_f32_e32 v155, v157, v155
	v_fma_f32 v157, 0xbf7ba420, v65, -v192
	s_delay_alu instid0(VALU_DEP_4) | instskip(SKIP_3) | instid1(VALU_DEP_3)
	v_add_f32_e32 v122, v123, v122
	v_fma_f32 v123, 0xbf7ba420, v78, -v164
	v_dual_fmac_f32 v159, 0x3f2c7751, v87 :: v_dual_add_f32 v156, v205, v156
	v_fmac_f32_e32 v161, 0xbf65296c, v90
	v_dual_add_f32 v157, v40, v157 :: v_dual_add_f32 v122, v123, v122
	s_delay_alu instid0(VALU_DEP_3) | instskip(SKIP_3) | instid1(VALU_DEP_3)
	v_add_f32_e32 v155, v159, v155
	v_fma_f32 v123, 0x3dbcf732, v81, -v166
	v_dual_add_f32 v121, v196, v121 :: v_dual_add_f32 v156, v203, v156
	v_fmac_f32_e32 v163, 0xbe3c28d5, v91
	v_dual_add_f32 v155, v161, v155 :: v_dual_add_f32 v122, v123, v122
	v_fma_f32 v123, 0x3f6eb680, v83, -v168
	v_fma_f32 v159, 0xbf1a4643, v89, -v171
	s_delay_alu instid0(VALU_DEP_3) | instskip(NEXT) | instid1(VALU_DEP_3)
	v_dual_add_f32 v156, v212, v156 :: v_dual_add_f32 v155, v163, v155
	v_dual_add_f32 v91, v40, v113 :: v_dual_add_f32 v122, v123, v122
	v_fmac_f32_e32 v165, 0x3f7ee86f, v93
	v_add_f32_e32 v86, v41, v117
	v_fma_f32 v117, 0xbe8c1d8e, v71, -v144
	s_delay_alu instid0(VALU_DEP_4) | instskip(NEXT) | instid1(VALU_DEP_4)
	v_dual_add_f32 v91, v112, v91 :: v_dual_add_f32 v122, v159, v122
	v_dual_add_f32 v155, v165, v155 :: v_dual_mul_f32 v112, 0x3dbcf732, v69
	s_delay_alu instid0(VALU_DEP_4) | instskip(NEXT) | instid1(VALU_DEP_4)
	v_dual_add_f32 v143, v150, v143 :: v_dual_add_f32 v86, v116, v86
	v_add_f32_e32 v85, v117, v85
	s_delay_alu instid0(VALU_DEP_3) | instskip(NEXT) | instid1(VALU_DEP_4)
	v_add_f32_e32 v155, v167, v155
	v_dual_fmac_f32 v177, 0xbf06c442, v90 :: v_dual_add_f32 v108, v108, v112
	s_delay_alu instid0(VALU_DEP_4) | instskip(NEXT) | instid1(VALU_DEP_3)
	v_add_f32_e32 v143, v151, v143
	v_dual_add_f32 v86, v115, v86 :: v_dual_add_f32 v123, v169, v155
	v_add_f32_e32 v155, v158, v157
	v_fma_f32 v157, 0xbf59a7d5, v71, -v211
	v_fma_f32 v158, 0xbf1a4643, v65, -v172
	v_add_f32_e32 v143, v149, v143
	v_add_f32_e32 v159, v41, v170
	s_delay_alu instid0(VALU_DEP_4)
	v_dual_add_f32 v86, v114, v86 :: v_dual_add_f32 v155, v157, v155
	v_fma_f32 v157, 0x3f3d2fb0, v74, -v210
	v_add_f32_e32 v158, v40, v158
	v_add_f32_e32 v116, v148, v143
	v_fmac_f32_e32 v175, 0xbeb8f4ab, v87
	v_fma_f32 v87, 0x3f6eb680, v74, -v142
	v_add_f32_e32 v155, v157, v155
	v_fma_f32 v157, 0xbf1a4643, v78, -v208
	v_dual_add_f32 v159, v173, v159 :: v_dual_add_f32 v158, v160, v158
	v_fma_f32 v160, 0x3f6eb680, v71, -v176
	v_add_f32_e32 v85, v87, v85
	s_delay_alu instid0(VALU_DEP_4)
	v_add_f32_e32 v155, v157, v155
	v_fma_f32 v157, 0x3ee437d1, v81, -v187
	v_fma_f32 v87, 0x3ee437d1, v78, -v141
	v_add_f32_e32 v158, v160, v158
	v_fma_f32 v160, 0xbf59a7d5, v74, -v178
	v_add_f32_e32 v90, v147, v116
	v_add_f32_e32 v159, v175, v159
	v_dual_add_f32 v155, v157, v155 :: v_dual_add_f32 v86, v135, v86
	v_fma_f32 v157, 0xbe8c1d8e, v83, -v186
	v_add_f32_e32 v85, v87, v85
	v_fma_f32 v87, 0xbf59a7d5, v81, -v140
	v_mul_f32_e32 v94, 0xbf1a4643, v72
	s_delay_alu instid0(VALU_DEP_4) | instskip(SKIP_1) | instid1(VALU_DEP_4)
	v_dual_mul_f32 v72, 0x3ee437d1, v72 :: v_dual_add_f32 v155, v157, v155
	v_add_f32_e32 v157, v160, v158
	v_add_f32_e32 v85, v87, v85
	v_mul_f32_e32 v87, 0x3f3d2fb0, v64
	v_fma_f32 v158, 0x3dbcf732, v78, -v180
	v_add_f32_e32 v159, v177, v159
	v_add_f32_e32 v94, v109, v94
	s_delay_alu instid0(VALU_DEP_4) | instskip(NEXT) | instid1(VALU_DEP_4)
	v_dual_add_f32 v86, v136, v86 :: v_dual_add_f32 v87, v106, v87
	v_add_f32_e32 v157, v158, v157
	v_fma_f32 v158, 0x3f3d2fb0, v81, -v182
	v_fma_f32 v106, 0xbf1a4643, v83, -v139
	s_delay_alu instid0(VALU_DEP_4) | instskip(NEXT) | instid1(VALU_DEP_3)
	v_dual_add_f32 v159, v179, v159 :: v_dual_add_f32 v86, v134, v86
	v_dual_add_f32 v87, v41, v87 :: v_dual_add_f32 v152, v158, v157
	v_fma_f32 v157, 0xbf7ba420, v83, -v185
	s_delay_alu instid0(VALU_DEP_4) | instskip(NEXT) | instid1(VALU_DEP_3)
	v_add_f32_e32 v85, v106, v85
	v_dual_mul_f32 v106, 0xbf7ba420, v77 :: v_dual_add_f32 v87, v108, v87
	s_delay_alu instid0(VALU_DEP_3) | instskip(SKIP_2) | instid1(VALU_DEP_4)
	v_dual_fmac_f32 v181, 0xbf2c7751, v93 :: v_dual_add_f32 v150, v157, v152
	v_add_f32_e32 v156, v213, v156
	v_fma_f32 v93, 0xbf7ba420, v71, -v129
	v_add_f32_e32 v87, v94, v87
	v_add_f32_e32 v94, v110, v106
	v_mul_f32_e32 v106, 0xbf59a7d5, v79
	v_add_f32_e32 v159, v181, v159
	v_fmac_f32_e32 v137, 0x3f2c7751, v107
	v_mul_f32_e32 v107, 0x3dbcf732, v68
	s_delay_alu instid0(VALU_DEP_4)
	v_dual_add_f32 v87, v94, v87 :: v_dual_add_f32 v94, v111, v106
	v_mul_f32_e32 v106, 0x3f3d2fb0, v65
	v_mul_f32_e32 v108, 0xbf7ba420, v102
	v_mul_f32_e32 v102, 0x3f6eb680, v102
	v_mul_f32_e32 v69, 0x3f3d2fb0, v69
	v_add_f32_e32 v21, v60, v72
	v_sub_f32_e32 v92, v106, v92
	v_mul_f32_e32 v106, 0x3f3d2fb0, v68
	v_mul_f32_e32 v65, 0x3f6eb680, v65
	v_dual_add_f32 v87, v94, v87 :: v_dual_mul_f32 v94, 0xbe8c1d8e, v82
	v_add_f32_e32 v22, v61, v69
	v_mul_f32_e32 v82, 0xbf1a4643, v82
	s_delay_alu instid0(VALU_DEP_4)
	v_sub_f32_e32 v26, v65, v56
	v_fma_f32 v109, 0x3dbcf732, v89, -v124
	v_add_f32_e32 v68, v105, v94
	v_dual_mul_f32 v94, 0x3dbcf732, v77 :: v_dual_add_f32 v91, v93, v91
	v_fma_f32 v93, 0xbe8c1d8e, v74, -v130
	v_add_f32_e32 v23, v40, v26
	s_delay_alu instid0(VALU_DEP_4) | instskip(NEXT) | instid1(VALU_DEP_3)
	v_dual_add_f32 v87, v68, v87 :: v_dual_mul_f32 v68, 0x3ee437d1, v84
	v_dual_mul_f32 v84, 0xbf59a7d5, v84 :: v_dual_add_f32 v91, v93, v91
	v_fma_f32 v93, 0x3f3d2fb0, v78, -v132
	v_dual_sub_f32 v26, v106, v58 :: v_dual_mul_f32 v79, 0xbe8c1d8e, v79
	v_mul_f32_e32 v105, 0xbf1a4643, v81
	v_add_f32_e32 v13, v73, v82
	s_delay_alu instid0(VALU_DEP_4)
	v_add_f32_e32 v91, v93, v91
	v_fma_f32 v93, 0x3f6eb680, v81, -v133
	v_fma_f32 v110, 0x3ee437d1, v89, -v153
	v_sub_f32_e32 v10, v105, v70
	v_add_f32_e32 v6, v88, v108
	v_add_f32_e32 v158, v184, v159
	;; [unrolled: 1-line block ×3, first 2 shown]
	v_fma_f32 v93, 0x3dbcf732, v83, -v131
	s_delay_alu instid0(VALU_DEP_1)
	v_add_f32_e32 v91, v93, v91
	v_sub_f32_e32 v93, v107, v99
	v_mul_f32_e32 v99, 0x3f6eb680, v64
	v_add_f32_e32 v64, v40, v92
	v_mul_f32_e32 v92, 0x3ee437d1, v71
	v_mul_f32_e32 v71, 0xbf1a4643, v71
	s_delay_alu instid0(VALU_DEP_3) | instskip(SKIP_1) | instid1(VALU_DEP_3)
	v_dual_add_f32 v63, v63, v99 :: v_dual_add_f32 v64, v93, v64
	v_mul_f32_e32 v93, 0x3dbcf732, v74
	v_dual_mul_f32 v74, 0xbf7ba420, v74 :: v_dual_sub_f32 v71, v71, v95
	v_dual_sub_f32 v18, v92, v57 :: v_dual_mul_f32 v95, 0xbe8c1d8e, v78
	s_delay_alu instid0(VALU_DEP_2) | instskip(NEXT) | instid1(VALU_DEP_3)
	v_add_f32_e32 v64, v71, v64
	v_dual_sub_f32 v71, v74, v96 :: v_dual_mul_f32 v74, 0xbf59a7d5, v83
	v_add_f32_e32 v41, v41, v63
	v_dual_mul_f32 v83, 0x3ee437d1, v83 :: v_dual_add_f32 v96, v104, v68
	s_delay_alu instid0(VALU_DEP_3) | instskip(NEXT) | instid1(VALU_DEP_3)
	v_dual_mul_f32 v104, 0xbf7ba420, v89 :: v_dual_sub_f32 v9, v74, v75
	v_add_f32_e32 v20, v22, v41
	v_add_f32_e32 v22, v26, v23
	v_dual_sub_f32 v17, v93, v59 :: v_dual_add_f32 v68, v154, v158
	v_add_f32_e32 v63, v109, v155
	s_delay_alu instid0(VALU_DEP_4) | instskip(SKIP_3) | instid1(VALU_DEP_4)
	v_dual_add_f32 v19, v21, v20 :: v_dual_add_f32 v20, v62, v94
	v_mul_f32_e32 v77, 0xbf59a7d5, v78
	v_dual_add_f32 v16, v18, v22 :: v_dual_mul_f32 v81, 0xbe8c1d8e, v81
	v_add_f32_e32 v14, v67, v79
	v_add_f32_e32 v18, v20, v19
	;; [unrolled: 1-line block ×3, first 2 shown]
	s_delay_alu instid0(VALU_DEP_4) | instskip(NEXT) | instid1(VALU_DEP_3)
	v_dual_add_f32 v15, v17, v16 :: v_dual_sub_f32 v16, v95, v66
	v_dual_add_f32 v107, v71, v64 :: v_dual_add_f32 v12, v14, v18
	v_sub_f32_e32 v77, v77, v98
	s_delay_alu instid0(VALU_DEP_3) | instskip(SKIP_2) | instid1(VALU_DEP_4)
	v_dual_sub_f32 v81, v81, v97 :: v_dual_add_f32 v14, v16, v15
	v_add_f32_e32 v78, v127, v86
	v_add_f32_e32 v71, v137, v90
	;; [unrolled: 1-line block ×3, first 2 shown]
	v_fma_f32 v86, 0xbf59a7d5, v89, -v128
	v_dual_add_f32 v8, v10, v14 :: v_dual_add_f32 v11, v13, v12
	s_delay_alu instid0(VALU_DEP_3) | instskip(NEXT) | instid1(VALU_DEP_2)
	v_dual_add_f32 v12, v76, v84 :: v_dual_add_f32 v81, v81, v77
	v_dual_mul_f32 v98, 0x3f6eb680, v89 :: v_dual_add_f32 v7, v9, v8
	v_sub_f32_e32 v8, v104, v80
	v_sub_f32_e32 v83, v83, v100
	v_fma_f32 v90, 0x3f3d2fb0, v89, -v138
	v_dual_add_f32 v89, v103, v102 :: v_dual_add_f32 v10, v12, v11
	v_add_f32_e32 v77, v86, v91
	v_mul_u32_u24_e32 v9, 0x88, v32
	v_dual_sub_f32 v25, v98, v101 :: v_dual_add_f32 v0, v8, v7
	v_add_f32_e32 v27, v83, v81
	v_add_f32_e32 v1, v6, v10
	s_delay_alu instid0(VALU_DEP_4) | instskip(SKIP_1) | instid1(VALU_DEP_4)
	v_add3_u32 v4, 0, v9, v51
	v_add_f32_e32 v24, v89, v87
	v_dual_add_f32 v70, v90, v85 :: v_dual_add_f32 v23, v25, v27
	v_dual_add_f32 v67, v110, v150 :: v_dual_add_f32 v64, v188, v156
	ds_store_2addr_b64 v4, v[2:3], v[0:1] offset1:1
	ds_store_2addr_b64 v4, v[23:24], v[77:78] offset0:2 offset1:3
	ds_store_2addr_b64 v4, v[70:71], v[122:123] offset0:4 offset1:5
	;; [unrolled: 1-line block ×7, first 2 shown]
	ds_store_b64 v4, v[38:39] offset:128
.LBB0_12:
	s_wait_alu 0xfffe
	s_or_b32 exec_lo, exec_lo, s1
	v_add_nc_u32_e32 v0, 0xc00, v50
	v_add_nc_u32_e32 v1, 0x1c00, v50
	global_wb scope:SCOPE_SE
	s_wait_dscnt 0x0
	s_barrier_signal -1
	s_barrier_wait -1
	global_inv scope:SCOPE_SE
	ds_load_b64 v[42:43], v48
	ds_load_2addr_b64 v[24:27], v54 offset0:16 offset1:101
	ds_load_2addr_b64 v[8:11], v0 offset0:58 offset1:160
	;; [unrolled: 1-line block ×7, first 2 shown]
	v_cmp_gt_u32_e64 s0, 17, v32
                                        ; implicit-def: $vgpr41
                                        ; implicit-def: $vgpr31
                                        ; implicit-def: $vgpr29
	s_delay_alu instid0(VALU_DEP_1)
	s_and_saveexec_b32 s1, s0
	s_cbranch_execz .LBB0_14
; %bb.13:
	ds_load_b64 v[36:37], v50 offset:2040
	ds_load_b64 v[38:39], v50 offset:4216
	;; [unrolled: 1-line block ×5, first 2 shown]
.LBB0_14:
	s_wait_alu 0xfffe
	s_or_b32 exec_lo, exec_lo, s1
	v_and_b32_e32 v44, 0xff, v32
	v_add_nc_u16 v52, v32, 0x55
	v_add_nc_u16 v56, v32, 0xaa
	s_delay_alu instid0(VALU_DEP_3) | instskip(NEXT) | instid1(VALU_DEP_3)
	v_mul_lo_u16 v44, 0xf1, v44
	v_and_b32_e32 v45, 0xff, v52
	s_delay_alu instid0(VALU_DEP_3) | instskip(NEXT) | instid1(VALU_DEP_3)
	v_and_b32_e32 v46, 0xff, v56
	v_lshrrev_b16 v72, 12, v44
	s_delay_alu instid0(VALU_DEP_3) | instskip(NEXT) | instid1(VALU_DEP_2)
	v_mul_lo_u16 v45, 0xf1, v45
	v_mul_lo_u16 v44, v72, 17
	s_delay_alu instid0(VALU_DEP_2) | instskip(NEXT) | instid1(VALU_DEP_2)
	v_lshrrev_b16 v74, 12, v45
	v_sub_nc_u16 v44, v32, v44
	s_delay_alu instid0(VALU_DEP_2) | instskip(NEXT) | instid1(VALU_DEP_2)
	v_mul_lo_u16 v54, v74, 17
	v_and_b32_e32 v73, 0xff, v44
	v_mul_lo_u16 v44, 0xf1, v46
	s_delay_alu instid0(VALU_DEP_3) | instskip(NEXT) | instid1(VALU_DEP_3)
	v_sub_nc_u16 v57, v52, v54
	v_lshlrev_b32_e32 v53, 5, v73
	s_delay_alu instid0(VALU_DEP_3) | instskip(SKIP_3) | instid1(VALU_DEP_2)
	v_lshrrev_b16 v75, 12, v44
	global_load_b128 v[44:47], v53, s[4:5]
	v_mul_lo_u16 v58, v75, 17
	v_and_b32_e32 v76, 0xff, v57
	v_sub_nc_u16 v56, v56, v58
	s_delay_alu instid0(VALU_DEP_2) | instskip(NEXT) | instid1(VALU_DEP_2)
	v_lshlrev_b32_e32 v60, 5, v76
	v_and_b32_e32 v77, 0xff, v56
	s_clause 0x1
	global_load_b128 v[56:59], v60, s[4:5]
	global_load_b128 v[52:55], v53, s[4:5] offset:16
	v_and_b32_e32 v72, 0xffff, v72
	v_and_b32_e32 v74, 0xffff, v74
	v_lshlrev_b32_e32 v68, 5, v77
	s_delay_alu instid0(VALU_DEP_2) | instskip(SKIP_4) | instid1(VALU_DEP_1)
	v_mad_u32_u24 v74, 0x2a8, v74, 0
	s_wait_loadcnt_dscnt 0x3
	v_dual_mul_f32 v78, v55, v7 :: v_dual_lshlrev_b32 v73, 3, v73
	v_mul_f32_e32 v55, v55, v6
	v_mad_u32_u24 v72, 0x2a8, v72, 0
	v_add3_u32 v72, v72, v73, v51
	v_lshlrev_b32_e32 v73, 3, v76
	v_lshlrev_b32_e32 v76, 3, v77
	v_mul_f32_e32 v77, v53, v13
	v_mul_f32_e32 v53, v53, v12
	s_clause 0x2
	global_load_b128 v[60:63], v60, s[4:5] offset:16
	global_load_b128 v[64:67], v68, s[4:5]
	global_load_b128 v[68:71], v68, s[4:5] offset:16
	v_and_b32_e32 v75, 0xffff, v75
	v_add3_u32 v73, v74, v73, v51
	global_wb scope:SCOPE_SE
	s_wait_loadcnt_dscnt 0x0
	s_barrier_signal -1
	s_barrier_wait -1
	v_mad_u32_u24 v75, 0x2a8, v75, 0
	global_inv scope:SCOPE_SE
	v_add3_u32 v74, v75, v76, v51
	v_mul_f32_e32 v75, v45, v25
	v_dual_mul_f32 v45, v45, v24 :: v_dual_mul_f32 v76, v47, v11
	v_mul_f32_e32 v47, v47, v10
	s_delay_alu instid0(VALU_DEP_3) | instskip(NEXT) | instid1(VALU_DEP_3)
	v_fma_f32 v24, v44, v24, -v75
	v_fmac_f32_e32 v45, v44, v25
	v_fma_f32 v25, v54, v6, -v78
	s_delay_alu instid0(VALU_DEP_4)
	v_fmac_f32_e32 v47, v46, v11
	v_fmac_f32_e32 v55, v54, v7
	v_mul_f32_e32 v7, v57, v26
	v_fma_f32 v10, v46, v10, -v76
	v_fma_f32 v11, v52, v12, -v77
	v_mul_f32_e32 v6, v57, v27
	v_mul_f32_e32 v12, v59, v21
	s_delay_alu instid0(VALU_DEP_2) | instskip(NEXT) | instid1(VALU_DEP_2)
	v_fma_f32 v6, v56, v26, -v6
	v_fma_f32 v12, v58, v20, -v12
	v_mul_f32_e32 v54, v16, v63
	v_dual_fmac_f32 v53, v52, v13 :: v_dual_mul_f32 v44, v61, v15
	v_dual_mul_f32 v46, v61, v14 :: v_dual_mul_f32 v13, v59, v20
	v_mul_f32_e32 v52, v17, v63
	v_mul_f32_e32 v57, v9, v65
	;; [unrolled: 1-line block ×7, first 2 shown]
	v_dual_mul_f32 v69, v19, v71 :: v_dual_fmac_f32 v54, v17, v62
	v_mul_f32_e32 v71, v18, v71
	v_fma_f32 v20, v60, v14, -v44
	v_add_f32_e32 v44, v47, v53
	v_fmac_f32_e32 v46, v60, v15
	v_fma_f32 v26, v16, v62, -v52
	v_fmac_f32_e32 v71, v19, v70
	v_sub_f32_e32 v16, v47, v53
	v_dual_fmac_f32 v13, v58, v21 :: v_dual_add_f32 v58, v45, v55
	v_fma_f32 v21, v4, v68, -v65
	v_add_f32_e32 v4, v42, v24
	v_fma_f32 v8, v8, v64, -v57
	v_sub_f32_e32 v19, v10, v24
	v_fmac_f32_e32 v7, v56, v27
	v_fma_f32 v27, v18, v70, -v69
	v_add_f32_e32 v18, v24, v25
	v_fma_f32 v14, v22, v66, -v61
	v_sub_f32_e32 v22, v11, v25
	v_sub_f32_e32 v56, v45, v47
	v_fmac_f32_e32 v67, v5, v68
	v_add_f32_e32 v5, v10, v11
	v_dual_sub_f32 v57, v55, v53 :: v_dual_sub_f32 v84, v14, v8
	v_dual_fmac_f32 v63, v23, v66 :: v_dual_sub_f32 v60, v53, v55
	v_sub_f32_e32 v15, v45, v55
	v_dual_sub_f32 v17, v25, v11 :: v_dual_sub_f32 v66, v12, v20
	v_dual_add_f32 v23, v43, v45 :: v_dual_sub_f32 v76, v46, v54
	v_dual_sub_f32 v52, v10, v11 :: v_dual_fmac_f32 v59, v9, v64
	v_dual_sub_f32 v45, v47, v45 :: v_dual_sub_f32 v88, v8, v27
	v_add_f32_e32 v64, v13, v46
	v_add_f32_e32 v62, v19, v22
	v_sub_f32_e32 v9, v24, v10
	v_add_f32_e32 v10, v4, v10
	v_fma_f32 v4, -0.5, v5, v42
	v_fma_f32 v42, -0.5, v18, v42
	v_fma_f32 v5, -0.5, v44, v43
	v_dual_add_f32 v44, v56, v57 :: v_dual_fmac_f32 v43, -0.5, v58
	v_sub_f32_e32 v68, v7, v13
	v_add_f32_e32 v18, v12, v20
	v_dual_sub_f32 v22, v26, v20 :: v_dual_sub_f32 v57, v12, v6
	v_add_f32_e32 v92, v59, v71
	v_sub_f32_e32 v58, v20, v26
	v_sub_f32_e32 v69, v54, v46
	v_dual_add_f32 v45, v45, v60 :: v_dual_sub_f32 v80, v63, v67
	v_dual_sub_f32 v19, v6, v12 :: v_dual_add_f32 v86, v3, v59
	v_add_f32_e32 v60, v1, v7
	v_dual_add_f32 v61, v9, v17 :: v_dual_add_f32 v70, v7, v54
	v_dual_add_f32 v9, v23, v47 :: v_dual_add_f32 v78, v14, v21
	v_dual_add_f32 v17, v0, v6 :: v_dual_sub_f32 v82, v27, v21
	v_dual_add_f32 v23, v6, v26 :: v_dual_sub_f32 v90, v59, v63
	v_dual_sub_f32 v65, v6, v26 :: v_dual_fmamk_f32 v6, v15, 0x3f737871, v4
	v_sub_f32_e32 v75, v13, v7
	v_sub_f32_e32 v79, v59, v71
	v_dual_fmac_f32 v4, 0xbf737871, v15 :: v_dual_add_f32 v77, v2, v8
	v_dual_add_f32 v57, v57, v58 :: v_dual_add_f32 v58, v68, v69
	v_add_f32_e32 v83, v8, v27
	v_dual_sub_f32 v24, v24, v25 :: v_dual_sub_f32 v47, v7, v54
	v_add_f32_e32 v94, v10, v11
	v_sub_f32_e32 v56, v13, v46
	v_sub_f32_e32 v81, v8, v14
	v_fmamk_f32 v8, v16, 0xbf737871, v42
	v_dual_fmac_f32 v42, 0x3f737871, v16 :: v_dual_add_f32 v53, v9, v53
	v_add_f32_e32 v17, v17, v12
	v_fma_f32 v10, -0.5, v18, v0
	v_add_f32_e32 v95, v19, v22
	v_fma_f32 v0, -0.5, v23, v0
	v_fmamk_f32 v9, v52, 0x3f737871, v43
	v_dual_fmac_f32 v43, 0xbf737871, v52 :: v_dual_add_f32 v22, v77, v14
	v_fma_f32 v12, -0.5, v78, v2
	s_delay_alu instid0(VALU_DEP_4)
	v_fmamk_f32 v18, v56, 0xbf737871, v0
	v_dual_add_f32 v19, v60, v13 :: v_dual_add_f32 v60, v75, v76
	v_add_f32_e32 v87, v63, v67
	v_fma_f32 v2, -0.5, v83, v2
	v_fma_f32 v11, -0.5, v64, v1
	v_add_f32_e32 v64, v81, v82
	v_fma_f32 v1, -0.5, v70, v1
	v_sub_f32_e32 v85, v21, v27
	v_dual_sub_f32 v89, v14, v21 :: v_dual_fmac_f32 v6, 0x3f167918, v16
	v_dual_sub_f32 v59, v63, v59 :: v_dual_fmac_f32 v4, 0xbf167918, v16
	v_fmamk_f32 v7, v24, 0xbf737871, v5
	v_dual_fmac_f32 v5, 0x3f737871, v24 :: v_dual_fmamk_f32 v16, v47, 0x3f737871, v10
	v_add_f32_e32 v23, v86, v63
	v_fma_f32 v13, -0.5, v87, v3
	v_dual_add_f32 v14, v94, v25 :: v_dual_sub_f32 v91, v71, v67
	v_add_f32_e32 v68, v84, v85
	v_fmac_f32_e32 v42, 0xbf167918, v15
	v_sub_f32_e32 v93, v67, v71
	v_fmac_f32_e32 v43, 0x3f167918, v24
	v_fmac_f32_e32 v0, 0x3f737871, v56
	;; [unrolled: 1-line block ×3, first 2 shown]
	v_add_f32_e32 v24, v17, v20
	v_fmamk_f32 v20, v79, 0x3f737871, v12
	v_fmac_f32_e32 v12, 0xbf737871, v79
	v_dual_fmac_f32 v0, 0xbf167918, v47 :: v_dual_add_f32 v25, v19, v46
	v_fmac_f32_e32 v4, 0x3e9e377a, v61
	v_add_f32_e32 v46, v22, v21
	v_dual_fmamk_f32 v22, v80, 0xbf737871, v2 :: v_dual_fmac_f32 v3, -0.5, v92
	v_dual_fmac_f32 v10, 0xbf737871, v47 :: v_dual_fmamk_f32 v17, v65, 0xbf737871, v11
	v_fmamk_f32 v19, v66, 0x3f737871, v1
	v_fmac_f32_e32 v1, 0xbf737871, v66
	v_dual_add_f32 v63, v90, v91 :: v_dual_fmac_f32 v2, 0x3f737871, v80
	v_dual_fmac_f32 v7, 0xbf167918, v52 :: v_dual_add_f32 v24, v24, v26
	v_dual_fmac_f32 v5, 0x3f167918, v52 :: v_dual_fmac_f32 v18, 0x3f167918, v47
	v_dual_fmac_f32 v11, 0x3f737871, v65 :: v_dual_add_f32 v52, v23, v67
	v_fmamk_f32 v21, v88, 0xbf737871, v13
	v_fmac_f32_e32 v13, 0x3f737871, v88
	v_fmamk_f32 v23, v89, 0x3f737871, v3
	v_fmac_f32_e32 v3, 0xbf737871, v89
	v_fmac_f32_e32 v8, 0x3f167918, v15
	v_dual_fmac_f32 v16, 0x3f167918, v56 :: v_dual_add_f32 v25, v25, v54
	v_dual_fmac_f32 v10, 0xbf167918, v56 :: v_dual_fmac_f32 v17, 0xbf167918, v66
	v_dual_fmac_f32 v19, 0xbf167918, v65 :: v_dual_fmac_f32 v12, 0xbf167918, v80
	;; [unrolled: 1-line block ×3, first 2 shown]
	v_dual_add_f32 v59, v59, v93 :: v_dual_fmac_f32 v8, 0x3e9e377a, v62
	v_dual_add_f32 v15, v53, v55 :: v_dual_fmac_f32 v6, 0x3e9e377a, v61
	v_dual_fmac_f32 v42, 0x3e9e377a, v62 :: v_dual_fmac_f32 v7, 0x3e9e377a, v44
	v_dual_fmac_f32 v11, 0x3f167918, v66 :: v_dual_fmac_f32 v20, 0x3f167918, v80
	;; [unrolled: 1-line block ×3, first 2 shown]
	v_fmac_f32_e32 v13, 0x3f167918, v89
	v_fmac_f32_e32 v23, 0xbf167918, v88
	;; [unrolled: 1-line block ×3, first 2 shown]
	v_dual_fmac_f32 v9, 0x3e9e377a, v45 :: v_dual_fmac_f32 v10, 0x3e9e377a, v95
	v_dual_add_f32 v26, v46, v27 :: v_dual_fmac_f32 v43, 0x3e9e377a, v45
	v_fmac_f32_e32 v20, 0x3e9e377a, v64
	v_dual_fmac_f32 v5, 0x3e9e377a, v44 :: v_dual_fmac_f32 v16, 0x3e9e377a, v95
	v_dual_fmac_f32 v0, 0x3e9e377a, v57 :: v_dual_fmac_f32 v17, 0x3e9e377a, v58
	v_dual_add_f32 v27, v52, v71 :: v_dual_fmac_f32 v18, 0x3e9e377a, v57
	v_fmac_f32_e32 v19, 0x3e9e377a, v60
	v_fmac_f32_e32 v1, 0x3e9e377a, v60
	v_dual_fmac_f32 v11, 0x3e9e377a, v58 :: v_dual_fmac_f32 v12, 0x3e9e377a, v64
	v_dual_fmac_f32 v22, 0x3e9e377a, v68 :: v_dual_fmac_f32 v21, 0x3e9e377a, v63
	;; [unrolled: 1-line block ×3, first 2 shown]
	v_fmac_f32_e32 v23, 0x3e9e377a, v59
	v_fmac_f32_e32 v3, 0x3e9e377a, v59
	ds_store_2addr_b64 v72, v[14:15], v[6:7] offset1:17
	ds_store_2addr_b64 v72, v[8:9], v[42:43] offset0:34 offset1:51
	ds_store_b64 v72, v[4:5] offset:544
	ds_store_2addr_b64 v73, v[24:25], v[16:17] offset1:17
	ds_store_2addr_b64 v73, v[18:19], v[0:1] offset0:34 offset1:51
	ds_store_b64 v73, v[10:11] offset:544
	;; [unrolled: 3-line block ×3, first 2 shown]
	s_and_saveexec_b32 s1, s0
	s_cbranch_execz .LBB0_16
; %bb.15:
	v_add_nc_u32_e32 v0, 0xff, v32
	s_delay_alu instid0(VALU_DEP_1) | instskip(NEXT) | instid1(VALU_DEP_1)
	v_and_b32_e32 v1, 0xffff, v0
	v_mul_u32_u24_e32 v1, 0xf0f1, v1
	s_delay_alu instid0(VALU_DEP_1) | instskip(NEXT) | instid1(VALU_DEP_1)
	v_lshrrev_b32_e32 v1, 20, v1
	v_mul_lo_u16 v1, v1, 17
	s_delay_alu instid0(VALU_DEP_1) | instskip(NEXT) | instid1(VALU_DEP_1)
	v_sub_nc_u16 v0, v0, v1
	v_and_b32_e32 v8, 0xffff, v0
	s_delay_alu instid0(VALU_DEP_1)
	v_lshlrev_b32_e32 v4, 5, v8
	s_clause 0x1
	global_load_b128 v[0:3], v4, s[4:5]
	global_load_b128 v[4:7], v4, s[4:5] offset:16
	s_wait_loadcnt 0x1
	v_mul_f32_e32 v9, v38, v1
	v_mul_f32_e32 v1, v39, v1
	s_wait_loadcnt 0x0
	v_dual_mul_f32 v13, v30, v5 :: v_dual_lshlrev_b32 v8, 3, v8
	v_dual_mul_f32 v14, v40, v7 :: v_dual_mul_f32 v5, v31, v5
	v_mul_f32_e32 v7, v41, v7
	s_delay_alu instid0(VALU_DEP_3) | instskip(NEXT) | instid1(VALU_DEP_4)
	v_fmac_f32_e32 v13, v31, v4
	v_add3_u32 v10, 0, v8, v51
	s_delay_alu instid0(VALU_DEP_4) | instskip(SKIP_2) | instid1(VALU_DEP_4)
	v_fmac_f32_e32 v14, v41, v6
	v_mul_f32_e32 v8, v28, v3
	v_mul_f32_e32 v3, v29, v3
	v_dual_fmac_f32 v9, v39, v0 :: v_dual_add_nc_u32 v12, 0x2800, v10
	v_fma_f32 v0, v38, v0, -v1
	s_delay_alu instid0(VALU_DEP_4) | instskip(SKIP_3) | instid1(VALU_DEP_4)
	v_fmac_f32_e32 v8, v29, v2
	v_fma_f32 v15, v40, v6, -v7
	v_fma_f32 v6, v28, v2, -v3
	;; [unrolled: 1-line block ×3, first 2 shown]
	v_dual_sub_f32 v5, v14, v13 :: v_dual_sub_f32 v4, v9, v8
	s_delay_alu instid0(VALU_DEP_4) | instskip(SKIP_1) | instid1(VALU_DEP_4)
	v_add_f32_e32 v22, v0, v15
	v_sub_f32_e32 v17, v0, v15
	v_dual_add_f32 v19, v37, v9 :: v_dual_add_f32 v26, v6, v16
	v_dual_sub_f32 v1, v8, v9 :: v_dual_sub_f32 v2, v13, v14
	v_dual_add_f32 v3, v9, v14 :: v_dual_sub_f32 v20, v6, v0
	v_dual_add_f32 v7, v8, v13 :: v_dual_sub_f32 v24, v9, v14
	s_delay_alu instid0(VALU_DEP_3)
	v_dual_sub_f32 v21, v16, v15 :: v_dual_add_f32 v28, v1, v2
	v_sub_f32_e32 v23, v8, v13
	v_sub_f32_e32 v9, v0, v6
	v_add_f32_e32 v27, v36, v0
	v_dual_add_f32 v29, v4, v5 :: v_dual_add_f32 v4, v19, v8
	v_fma_f32 v0, -0.5, v22, v36
	v_sub_f32_e32 v25, v15, v16
	v_dual_sub_f32 v18, v6, v16 :: v_dual_add_nc_u32 v11, 0x2400, v10
	v_fma_f32 v1, -0.5, v3, v37
	v_fma_f32 v3, -0.5, v7, v37
	;; [unrolled: 1-line block ×3, first 2 shown]
	v_add_f32_e32 v19, v20, v21
	v_add_f32_e32 v20, v9, v25
	v_dual_add_f32 v8, v27, v6 :: v_dual_fmamk_f32 v5, v18, 0xbf737871, v1
	s_delay_alu instid0(VALU_DEP_4) | instskip(SKIP_1) | instid1(VALU_DEP_3)
	v_fmamk_f32 v6, v24, 0xbf737871, v2
	v_dual_fmac_f32 v1, 0x3f737871, v18 :: v_dual_fmac_f32 v2, 0x3f737871, v24
	v_dual_add_f32 v8, v8, v16 :: v_dual_fmamk_f32 v7, v17, 0x3f737871, v3
	v_fmac_f32_e32 v3, 0xbf737871, v17
	v_dual_add_f32 v9, v4, v13 :: v_dual_fmamk_f32 v4, v23, 0x3f737871, v0
	v_fmac_f32_e32 v0, 0xbf737871, v23
	v_fmac_f32_e32 v2, 0x3f167918, v23
	s_delay_alu instid0(VALU_DEP_4) | instskip(NEXT) | instid1(VALU_DEP_4)
	v_dual_fmac_f32 v3, 0xbf167918, v18 :: v_dual_add_f32 v8, v8, v15
	v_fmac_f32_e32 v4, 0xbf167918, v24
	v_fmac_f32_e32 v7, 0x3f167918, v18
	v_dual_fmac_f32 v5, 0x3f167918, v17 :: v_dual_fmac_f32 v0, 0x3f167918, v24
	v_dual_fmac_f32 v1, 0xbf167918, v17 :: v_dual_fmac_f32 v6, 0xbf167918, v23
	s_delay_alu instid0(VALU_DEP_4) | instskip(NEXT) | instid1(VALU_DEP_4)
	v_dual_add_f32 v9, v9, v14 :: v_dual_fmac_f32 v4, 0x3e9e377a, v19
	v_dual_fmac_f32 v7, 0x3e9e377a, v29 :: v_dual_fmac_f32 v2, 0x3e9e377a, v20
	s_delay_alu instid0(VALU_DEP_3)
	v_dual_fmac_f32 v3, 0x3e9e377a, v29 :: v_dual_fmac_f32 v6, 0x3e9e377a, v20
	v_dual_fmac_f32 v5, 0x3e9e377a, v28 :: v_dual_fmac_f32 v0, 0x3e9e377a, v19
	v_fmac_f32_e32 v1, 0x3e9e377a, v28
	ds_store_2addr_b64 v11, v[8:9], v[2:3] offset0:123 offset1:140
	ds_store_2addr_b64 v12, v[0:1], v[4:5] offset0:29 offset1:46
	ds_store_b64 v10, v[6:7] offset:10744
.LBB0_16:
	s_wait_alu 0xfffe
	s_or_b32 exec_lo, exec_lo, s1
	v_mul_u32_u24_e32 v0, 15, v32
	global_wb scope:SCOPE_SE
	s_wait_dscnt 0x0
	s_barrier_signal -1
	s_barrier_wait -1
	global_inv scope:SCOPE_SE
	v_lshlrev_b32_e32 v28, 3, v0
	s_mov_b32 s1, exec_lo
	s_clause 0x7
	global_load_b128 v[0:3], v28, s[4:5] offset:544
	global_load_b128 v[4:7], v28, s[4:5] offset:560
	;; [unrolled: 1-line block ×7, first 2 shown]
	global_load_b64 v[63:64], v28, s[4:5] offset:656
	ds_load_2addr_b64 v[28:31], v50 offset0:85 offset1:170
	v_add_nc_u32_e32 v36, 0x400, v50
	s_wait_loadcnt_dscnt 0x700
	v_dual_mul_f32 v76, v3, v31 :: v_dual_add_nc_u32 v69, 0x800, v50
	v_mul_f32_e32 v75, v1, v29
	v_mul_f32_e32 v1, v1, v28
	ds_load_2addr_b64 v[36:39], v36 offset0:127 offset1:212
	ds_load_2addr_b64 v[40:43], v69 offset0:169 offset1:254
	ds_load_b64 v[65:66], v48
	ds_load_b64 v[67:68], v50 offset:10200
	v_add_nc_u32_e32 v70, 0x1000, v50
	v_add_nc_u32_e32 v51, 0x1400, v50
	v_add_nc_u32_e32 v71, 0x1800, v50
	v_add_nc_u32_e32 v72, 0x2000, v50
	v_add_nc_u32_e32 v74, 0x1c00, v50
	v_fma_f32 v28, v0, v28, -v75
	v_fmac_f32_e32 v1, v0, v29
	v_fma_f32 v0, v2, v30, -v76
	s_wait_loadcnt_dscnt 0x502
	v_dual_mul_f32 v80, v43, v11 :: v_dual_mul_f32 v77, v5, v37
	v_dual_mul_f32 v5, v5, v36 :: v_dual_mul_f32 v78, v39, v7
	ds_load_2addr_b64 v[44:47], v70 offset0:83 offset1:168
	ds_load_2addr_b64 v[51:54], v51 offset0:125 offset1:210
	;; [unrolled: 1-line block ×4, first 2 shown]
	v_mul_f32_e32 v3, v3, v30
	v_mul_f32_e32 v7, v38, v7
	v_mul_f32_e32 v79, v41, v9
	v_mul_f32_e32 v9, v40, v9
	v_mul_f32_e32 v11, v42, v11
	s_wait_loadcnt_dscnt 0x4
	v_mul_f32_e32 v89, v68, v64
	v_dual_mul_f32 v64, v67, v64 :: v_dual_add_nc_u32 v73, 0xc00, v50
	v_fmac_f32_e32 v5, v4, v37
	v_fmac_f32_e32 v7, v39, v6
	s_delay_alu instid0(VALU_DEP_3)
	v_dual_fmac_f32 v11, v43, v10 :: v_dual_fmac_f32 v64, v68, v63
	global_wb scope:SCOPE_SE
	s_wait_dscnt 0x0
	s_barrier_signal -1
	s_barrier_wait -1
	global_inv scope:SCOPE_SE
	v_mul_f32_e32 v81, v45, v13
	v_dual_mul_f32 v13, v44, v13 :: v_dual_mul_f32 v82, v47, v15
	v_mul_f32_e32 v84, v54, v19
	v_mul_f32_e32 v86, v58, v23
	;; [unrolled: 1-line block ×3, first 2 shown]
	v_fmac_f32_e32 v3, v2, v31
	v_fma_f32 v2, v4, v36, -v77
	v_fma_f32 v4, v38, v6, -v78
	;; [unrolled: 1-line block ×3, first 2 shown]
	v_fmac_f32_e32 v9, v41, v8
	v_fma_f32 v8, v42, v10, -v80
	v_fma_f32 v10, v44, v12, -v81
	v_mul_f32_e32 v23, v57, v23
	v_mul_f32_e32 v15, v46, v15
	v_fmac_f32_e32 v13, v45, v12
	v_fma_f32 v12, v46, v14, -v82
	v_mul_f32_e32 v83, v52, v17
	v_fmac_f32_e32 v23, v58, v22
	v_fmac_f32_e32 v15, v47, v14
	s_delay_alu instid0(VALU_DEP_4) | instskip(SKIP_1) | instid1(VALU_DEP_4)
	v_dual_mul_f32 v17, v51, v17 :: v_dual_sub_f32 v12, v65, v12
	v_mul_f32_e32 v19, v53, v19
	v_sub_f32_e32 v23, v7, v23
	v_mul_f32_e32 v85, v56, v21
	v_fma_f32 v14, v51, v16, -v83
	v_mul_f32_e32 v21, v55, v21
	v_fmac_f32_e32 v17, v52, v16
	v_fma_f32 v7, v7, 2.0, -v23
	v_sub_f32_e32 v23, v12, v23
	v_sub_f32_e32 v15, v66, v15
	v_fma_f32 v16, v53, v18, -v84
	v_sub_f32_e32 v14, v28, v14
	v_fmac_f32_e32 v21, v56, v20
	v_fma_f32 v30, v65, 2.0, -v12
	v_fma_f32 v31, v66, 2.0, -v15
	v_sub_f32_e32 v16, v0, v16
	v_fma_f32 v28, v28, 2.0, -v14
	v_sub_f32_e32 v29, v13, v64
	;; [unrolled: 2-line block ×3, first 2 shown]
	v_fmac_f32_e32 v19, v54, v18
	v_fma_f32 v18, v55, v20, -v85
	v_fma_f32 v20, v57, v22, -v86
	v_fma_f32 v0, v0, 2.0, -v16
	v_fma_f32 v13, v13, 2.0, -v29
	s_delay_alu instid0(VALU_DEP_4) | instskip(NEXT) | instid1(VALU_DEP_4)
	v_sub_f32_e32 v18, v2, v18
	v_sub_f32_e32 v20, v4, v20
	v_mul_f32_e32 v87, v60, v25
	s_delay_alu instid0(VALU_DEP_3) | instskip(NEXT) | instid1(VALU_DEP_3)
	v_fma_f32 v2, v2, 2.0, -v18
	v_fma_f32 v4, v4, 2.0, -v20
	v_add_f32_e32 v20, v15, v20
	s_delay_alu instid0(VALU_DEP_4) | instskip(SKIP_1) | instid1(VALU_DEP_4)
	v_fma_f32 v22, v59, v24, -v87
	v_sub_f32_e32 v29, v18, v29
	v_dual_sub_f32 v4, v30, v4 :: v_dual_sub_f32 v17, v1, v17
	s_delay_alu instid0(VALU_DEP_3) | instskip(NEXT) | instid1(VALU_DEP_3)
	v_dual_sub_f32 v22, v6, v22 :: v_dual_mul_f32 v25, v59, v25
	v_fma_f32 v18, v18, 2.0, -v29
	s_delay_alu instid0(VALU_DEP_3) | instskip(NEXT) | instid1(VALU_DEP_4)
	v_fma_f32 v30, v30, 2.0, -v4
	v_fma_f32 v1, v1, 2.0, -v17
	s_delay_alu instid0(VALU_DEP_4) | instskip(SKIP_2) | instid1(VALU_DEP_2)
	v_fma_f32 v6, v6, 2.0, -v22
	v_dual_add_f32 v22, v17, v22 :: v_dual_fmac_f32 v25, v60, v24
	v_fma_f32 v24, v61, v26, -v88
	v_dual_sub_f32 v6, v28, v6 :: v_dual_sub_f32 v25, v9, v25
	s_delay_alu instid0(VALU_DEP_2) | instskip(NEXT) | instid1(VALU_DEP_2)
	v_sub_f32_e32 v24, v8, v24
	v_fma_f32 v28, v28, 2.0, -v6
	s_delay_alu instid0(VALU_DEP_3) | instskip(NEXT) | instid1(VALU_DEP_3)
	v_fma_f32 v9, v9, 2.0, -v25
	v_fma_f32 v8, v8, 2.0, -v24
	s_delay_alu instid0(VALU_DEP_1) | instskip(NEXT) | instid1(VALU_DEP_1)
	v_dual_sub_f32 v9, v1, v9 :: v_dual_sub_f32 v8, v0, v8
	v_fma_f32 v40, v1, 2.0, -v9
	s_delay_alu instid0(VALU_DEP_2) | instskip(SKIP_3) | instid1(VALU_DEP_2)
	v_add_f32_e32 v44, v7, v8
	v_sub_f32_e32 v19, v3, v19
	v_mul_f32_e32 v27, v61, v27
	v_fma_f32 v0, v0, 2.0, -v8
	v_dual_add_f32 v24, v19, v24 :: v_dual_fmac_f32 v27, v62, v26
	v_fma_f32 v26, v67, v63, -v89
	s_delay_alu instid0(VALU_DEP_1) | instskip(NEXT) | instid1(VALU_DEP_1)
	v_dual_fmamk_f32 v37, v24, 0x3f3504f3, v20 :: v_dual_sub_f32 v26, v10, v26
	v_fma_f32 v10, v10, 2.0, -v26
	s_delay_alu instid0(VALU_DEP_1) | instskip(NEXT) | instid1(VALU_DEP_1)
	v_dual_sub_f32 v10, v2, v10 :: v_dual_sub_f32 v21, v5, v21
	v_fma_f32 v1, v2, 2.0, -v10
	s_delay_alu instid0(VALU_DEP_2) | instskip(SKIP_1) | instid1(VALU_DEP_3)
	v_fma_f32 v5, v5, 2.0, -v21
	v_add_f32_e32 v26, v21, v26
	v_dual_add_f32 v45, v9, v10 :: v_dual_sub_f32 v10, v28, v1
	s_delay_alu instid0(VALU_DEP_3) | instskip(NEXT) | instid1(VALU_DEP_3)
	v_sub_f32_e32 v13, v5, v13
	v_fmamk_f32 v39, v26, 0x3f3504f3, v22
	v_fma_f32 v21, v21, 2.0, -v26
	s_delay_alu instid0(VALU_DEP_4) | instskip(NEXT) | instid1(VALU_DEP_4)
	v_fmamk_f32 v1, v45, 0x3f3504f3, v44
	v_fma_f32 v2, v5, 2.0, -v13
	v_sub_f32_e32 v13, v6, v13
	v_sub_f32_e32 v27, v11, v27
	v_fmac_f32_e32 v39, 0x3f3504f3, v29
	s_delay_alu instid0(VALU_DEP_4) | instskip(SKIP_1) | instid1(VALU_DEP_4)
	v_dual_sub_f32 v25, v14, v25 :: v_dual_sub_f32 v8, v40, v2
	v_fma_f32 v3, v3, 2.0, -v19
	v_fma_f32 v11, v11, 2.0, -v27
	;; [unrolled: 1-line block ×3, first 2 shown]
	s_delay_alu instid0(VALU_DEP_4) | instskip(SKIP_1) | instid1(VALU_DEP_2)
	v_fmamk_f32 v38, v29, 0x3f3504f3, v25
	v_fmac_f32_e32 v1, 0x3f3504f3, v13
	v_dual_sub_f32 v11, v3, v11 :: v_dual_fmac_f32 v38, 0xbf3504f3, v26
	s_delay_alu instid0(VALU_DEP_1) | instskip(SKIP_1) | instid1(VALU_DEP_2)
	v_dual_sub_f32 v26, v30, v0 :: v_dual_sub_f32 v43, v4, v11
	v_fma_f32 v3, v3, 2.0, -v11
	v_dual_fmamk_f32 v0, v13, 0x3f3504f3, v43 :: v_dual_sub_f32 v27, v16, v27
	v_fma_f32 v46, v4, 2.0, -v43
	s_delay_alu instid0(VALU_DEP_2) | instskip(NEXT) | instid1(VALU_DEP_3)
	v_fmac_f32_e32 v0, 0xbf3504f3, v45
	v_fmamk_f32 v36, v27, 0x3f3504f3, v23
	v_fma_f32 v15, v15, 2.0, -v20
	v_fma_f32 v16, v16, 2.0, -v27
	v_fmac_f32_e32 v37, 0x3f3504f3, v27
	s_delay_alu instid0(VALU_DEP_4) | instskip(NEXT) | instid1(VALU_DEP_4)
	v_fmac_f32_e32 v36, 0xbf3504f3, v24
	v_fmamk_f32 v42, v19, 0xbf3504f3, v15
	v_fma_f32 v17, v17, 2.0, -v22
	v_fmamk_f32 v41, v16, 0xbf3504f3, v12
	v_fma_f32 v51, v20, 2.0, -v37
	v_fmamk_f32 v2, v38, 0x3f6c835e, v36
	v_fmac_f32_e32 v42, 0x3f3504f3, v16
	v_fmamk_f32 v27, v21, 0xbf3504f3, v17
	v_fma_f32 v16, v6, 2.0, -v13
	v_fmac_f32_e32 v41, 0xbf3504f3, v19
	v_fmac_f32_e32 v2, 0xbec3ef15, v39
	v_fma_f32 v14, v14, 2.0, -v25
	v_fmac_f32_e32 v27, 0x3f3504f3, v18
	v_fmamk_f32 v4, v16, 0xbf3504f3, v46
	v_fma_f32 v19, v25, 2.0, -v38
	v_fma_f32 v20, v22, 2.0, -v39
	v_fmamk_f32 v24, v18, 0xbf3504f3, v14
	v_fma_f32 v18, v9, 2.0, -v45
	v_fma_f32 v22, v30, 2.0, -v26
	;; [unrolled: 1-line block ×4, first 2 shown]
	v_fmac_f32_e32 v24, 0xbf3504f3, v21
	v_fmac_f32_e32 v4, 0xbf3504f3, v18
	v_fma_f32 v31, v31, 2.0, -v7
	v_fma_f32 v47, v7, 2.0, -v44
	v_sub_f32_e32 v12, v22, v12
	v_fma_f32 v28, v14, 2.0, -v24
	v_fmamk_f32 v7, v20, 0xbec3ef15, v51
	v_sub_f32_e32 v29, v31, v3
	v_fmamk_f32 v3, v39, 0x3f6c835e, v37
	v_fmamk_f32 v5, v18, 0xbf3504f3, v47
	;; [unrolled: 1-line block ×4, first 2 shown]
	v_fma_f32 v25, v31, 2.0, -v29
	v_fma_f32 v31, v15, 2.0, -v42
	;; [unrolled: 1-line block ×3, first 2 shown]
	v_sub_f32_e32 v8, v26, v8
	v_fma_f32 v23, v23, 2.0, -v36
	v_fma_f32 v40, v17, 2.0, -v27
	v_dual_add_f32 v9, v29, v10 :: v_dual_fmamk_f32 v10, v24, 0x3ec3ef15, v41
	v_fmac_f32_e32 v3, 0x3ec3ef15, v38
	s_delay_alu instid0(VALU_DEP_4) | instskip(NEXT) | instid1(VALU_DEP_4)
	v_dual_fmamk_f32 v6, v19, 0xbec3ef15, v23 :: v_dual_sub_f32 v13, v25, v15
	v_fmamk_f32 v15, v40, 0xbf6c835e, v31
	v_fmac_f32_e32 v5, 0x3f3504f3, v16
	v_fmac_f32_e32 v7, 0x3f6c835e, v19
	s_delay_alu instid0(VALU_DEP_4)
	v_fmac_f32_e32 v6, 0xbf6c835e, v20
	v_fmac_f32_e32 v10, 0xbf6c835e, v27
	;; [unrolled: 1-line block ×3, first 2 shown]
	v_fma_f32 v18, v43, 2.0, -v0
	v_fma_f32 v19, v44, 2.0, -v1
	;; [unrolled: 1-line block ×4, first 2 shown]
	v_fmac_f32_e32 v14, 0xbec3ef15, v40
	v_fmac_f32_e32 v15, 0x3ec3ef15, v28
	ds_store_2addr_b64 v72, v[0:1], v[2:3] offset0:166 offset1:251
	v_fma_f32 v0, v22, 2.0, -v12
	v_fma_f32 v2, v46, 2.0, -v4
	;; [unrolled: 1-line block ×10, first 2 shown]
	ds_store_2addr_b64 v73, v[18:19], v[20:21] offset0:126 offset1:211
	ds_store_2addr_b64 v71, v[4:5], v[6:7] offset0:82 offset1:167
	v_fma_f32 v4, v30, 2.0, -v14
	v_fma_f32 v5, v31, 2.0, -v15
	ds_store_2addr_b64 v74, v[8:9], v[10:11] offset0:124 offset1:209
	ds_store_2addr_b64 v50, v[2:3], v[22:23] offset0:170 offset1:255
	;; [unrolled: 1-line block ×4, first 2 shown]
	ds_store_2addr_b64 v50, v[0:1], v[4:5] offset1:85
	global_wb scope:SCOPE_SE
	s_wait_dscnt 0x0
	s_barrier_signal -1
	s_barrier_wait -1
	global_inv scope:SCOPE_SE
	ds_load_b64 v[0:1], v48
	v_sub_nc_u32_e32 v6, v33, v49
                                        ; implicit-def: $vgpr2
                                        ; implicit-def: $vgpr7
                                        ; implicit-def: $vgpr8
                                        ; implicit-def: $vgpr4_vgpr5
	v_cmpx_ne_u32_e32 0, v32
	s_wait_alu 0xfffe
	s_xor_b32 s1, exec_lo, s1
	s_cbranch_execz .LBB0_18
; %bb.17:
	ds_load_b64 v[4:5], v6 offset:10880
	s_wait_dscnt 0x0
	v_dual_mov_b32 v33, 0 :: v_dual_add_f32 v8, v5, v1
	s_delay_alu instid0(VALU_DEP_1) | instskip(SKIP_1) | instid1(VALU_DEP_3)
	v_lshlrev_b64_e32 v[2:3], 3, v[32:33]
	v_sub_f32_e32 v1, v1, v5
	v_mul_f32_e32 v9, 0.5, v8
	s_delay_alu instid0(VALU_DEP_3) | instskip(SKIP_1) | instid1(VALU_DEP_4)
	v_add_co_u32 v2, s0, s4, v2
	s_wait_alu 0xf1ff
	v_add_co_ci_u32_e64 v3, s0, s5, v3, s0
	global_load_b64 v[2:3], v[2:3], off offset:10744
	v_sub_f32_e32 v7, v0, v4
	v_dual_add_f32 v0, v4, v0 :: v_dual_mul_f32 v1, 0.5, v1
	s_delay_alu instid0(VALU_DEP_2) | instskip(SKIP_1) | instid1(VALU_DEP_1)
	v_mul_f32_e32 v5, 0.5, v7
	s_wait_loadcnt 0x0
	v_mul_f32_e32 v4, v3, v5
	s_delay_alu instid0(VALU_DEP_3) | instskip(SKIP_1) | instid1(VALU_DEP_3)
	v_fma_f32 v8, v9, v3, v1
	v_fma_f32 v1, v9, v3, -v1
	v_fma_f32 v7, 0.5, v0, v4
	v_fma_f32 v0, v0, 0.5, -v4
	s_delay_alu instid0(VALU_DEP_4) | instskip(NEXT) | instid1(VALU_DEP_4)
	v_fma_f32 v8, -v2, v5, v8
	v_fma_f32 v3, -v2, v5, v1
	s_delay_alu instid0(VALU_DEP_4) | instskip(NEXT) | instid1(VALU_DEP_4)
	v_dual_mov_b32 v4, v32 :: v_dual_fmac_f32 v7, v2, v9
	v_fma_f32 v2, -v2, v9, v0
	v_mov_b32_e32 v5, v33
                                        ; implicit-def: $vgpr0_vgpr1
                                        ; implicit-def: $vgpr33
.LBB0_18:
	s_wait_alu 0xfffe
	s_and_not1_saveexec_b32 s0, s1
	s_cbranch_execz .LBB0_20
; %bb.19:
	ds_load_b32 v3, v33 offset:5444
	s_wait_dscnt 0x1
	v_dual_add_f32 v7, v0, v1 :: v_dual_mov_b32 v4, 0
	v_dual_sub_f32 v2, v0, v1 :: v_dual_mov_b32 v5, 0
	v_mov_b32_e32 v8, 0
	s_wait_dscnt 0x0
	v_xor_b32_e32 v0, 0x80000000, v3
	v_mov_b32_e32 v3, 0
	ds_store_b32 v33, v0 offset:5444
.LBB0_20:
	s_wait_alu 0xfffe
	s_or_b32 exec_lo, exec_lo, s0
	s_wait_dscnt 0x0
	v_lshlrev_b64_e32 v[0:1], 3, v[4:5]
	s_add_nc_u64 s[0:1], s[4:5], 0x29f8
	s_wait_alu 0xfffe
	s_delay_alu instid0(VALU_DEP_1) | instskip(SKIP_1) | instid1(VALU_DEP_2)
	v_add_co_u32 v4, s0, s0, v0
	s_wait_alu 0xf1ff
	v_add_co_ci_u32_e64 v5, s0, s1, v1, s0
	s_clause 0x5
	global_load_b64 v[9:10], v[4:5], off offset:680
	global_load_b64 v[11:12], v[4:5], off offset:1360
	global_load_b64 v[13:14], v[4:5], off offset:2040
	global_load_b64 v[15:16], v[4:5], off offset:2720
	global_load_b64 v[17:18], v[4:5], off offset:3400
	global_load_b64 v[19:20], v[4:5], off offset:4080
	ds_store_2addr_b32 v48, v7, v8 offset1:1
	ds_store_b64 v6, v[2:3] offset:10880
	global_load_b64 v[7:8], v[4:5], off offset:4760
	ds_load_b64 v[2:3], v48 offset:680
	ds_load_b64 v[4:5], v6 offset:10200
	s_wait_dscnt 0x0
	v_dual_sub_f32 v21, v2, v4 :: v_dual_add_f32 v22, v3, v5
	v_dual_sub_f32 v3, v3, v5 :: v_dual_add_f32 v2, v2, v4
	s_delay_alu instid0(VALU_DEP_2) | instskip(SKIP_1) | instid1(VALU_DEP_1)
	v_mul_f32_e32 v5, 0.5, v21
	s_wait_loadcnt 0x6
	v_dual_mul_f32 v21, 0.5, v22 :: v_dual_mul_f32 v4, v10, v5
	s_delay_alu instid0(VALU_DEP_3) | instskip(NEXT) | instid1(VALU_DEP_1)
	v_mul_f32_e32 v3, 0.5, v3
	v_fma_f32 v22, v21, v10, v3
	v_fma_f32 v3, v21, v10, -v3
	s_delay_alu instid0(VALU_DEP_4) | instskip(SKIP_1) | instid1(VALU_DEP_4)
	v_fma_f32 v10, 0.5, v2, v4
	v_fma_f32 v2, v2, 0.5, -v4
	v_fma_f32 v4, -v9, v5, v22
	s_delay_alu instid0(VALU_DEP_4) | instskip(NEXT) | instid1(VALU_DEP_4)
	v_fma_f32 v3, -v9, v5, v3
	v_fmac_f32_e32 v10, v9, v21
	s_delay_alu instid0(VALU_DEP_4)
	v_fma_f32 v2, -v9, v21, v2
	ds_store_2addr_b32 v48, v10, v4 offset0:170 offset1:171
	ds_store_b64 v6, v[2:3] offset:10200
	ds_load_b64 v[2:3], v48 offset:1360
	ds_load_b64 v[4:5], v6 offset:9520
	v_add_nc_u32_e32 v21, 0x400, v48
	s_wait_dscnt 0x0
	v_dual_sub_f32 v9, v2, v4 :: v_dual_add_f32 v10, v3, v5
	v_dual_sub_f32 v3, v3, v5 :: v_dual_add_f32 v2, v2, v4
	s_delay_alu instid0(VALU_DEP_2) | instskip(SKIP_1) | instid1(VALU_DEP_1)
	v_mul_f32_e32 v5, 0.5, v9
	s_wait_loadcnt 0x5
	v_dual_mul_f32 v9, 0.5, v10 :: v_dual_mul_f32 v4, v12, v5
	s_delay_alu instid0(VALU_DEP_3) | instskip(NEXT) | instid1(VALU_DEP_1)
	v_mul_f32_e32 v3, 0.5, v3
	v_fma_f32 v10, v9, v12, v3
	v_fma_f32 v3, v9, v12, -v3
	s_delay_alu instid0(VALU_DEP_4) | instskip(SKIP_1) | instid1(VALU_DEP_4)
	v_fma_f32 v12, 0.5, v2, v4
	v_fma_f32 v2, v2, 0.5, -v4
	v_fma_f32 v4, -v11, v5, v10
	s_delay_alu instid0(VALU_DEP_4) | instskip(NEXT) | instid1(VALU_DEP_4)
	v_fma_f32 v3, -v11, v5, v3
	v_fmac_f32_e32 v12, v11, v9
	s_delay_alu instid0(VALU_DEP_4)
	v_fma_f32 v2, -v11, v9, v2
	ds_store_2addr_b32 v21, v12, v4 offset0:84 offset1:85
	ds_store_b64 v6, v[2:3] offset:9520
	ds_load_b64 v[2:3], v48 offset:2040
	ds_load_b64 v[4:5], v6 offset:8840
	s_wait_dscnt 0x0
	v_dual_sub_f32 v9, v2, v4 :: v_dual_add_f32 v10, v3, v5
	v_dual_sub_f32 v3, v3, v5 :: v_dual_add_f32 v2, v2, v4
	s_delay_alu instid0(VALU_DEP_2) | instskip(NEXT) | instid1(VALU_DEP_3)
	v_mul_f32_e32 v5, 0.5, v9
	v_mul_f32_e32 v9, 0.5, v10
	s_wait_loadcnt 0x4
	s_delay_alu instid0(VALU_DEP_2) | instskip(NEXT) | instid1(VALU_DEP_1)
	v_dual_mul_f32 v3, 0.5, v3 :: v_dual_mul_f32 v4, v14, v5
	v_fma_f32 v10, v9, v14, v3
	v_fma_f32 v3, v9, v14, -v3
	s_delay_alu instid0(VALU_DEP_3) | instskip(SKIP_1) | instid1(VALU_DEP_4)
	v_fma_f32 v11, 0.5, v2, v4
	v_fma_f32 v2, v2, 0.5, -v4
	v_fma_f32 v4, -v13, v5, v10
	s_delay_alu instid0(VALU_DEP_4) | instskip(NEXT) | instid1(VALU_DEP_4)
	v_fma_f32 v3, -v13, v5, v3
	v_fmac_f32_e32 v11, v13, v9
	s_delay_alu instid0(VALU_DEP_4)
	v_fma_f32 v2, -v13, v9, v2
	ds_store_2addr_b32 v21, v11, v4 offset0:254 offset1:255
	ds_store_b64 v6, v[2:3] offset:8840
	ds_load_b64 v[2:3], v48 offset:2720
	ds_load_b64 v[4:5], v6 offset:8160
	s_wait_dscnt 0x0
	v_dual_sub_f32 v9, v2, v4 :: v_dual_add_f32 v10, v3, v5
	v_dual_sub_f32 v3, v3, v5 :: v_dual_add_f32 v2, v2, v4
	s_delay_alu instid0(VALU_DEP_2) | instskip(NEXT) | instid1(VALU_DEP_3)
	v_mul_f32_e32 v5, 0.5, v9
	v_mul_f32_e32 v9, 0.5, v10
	s_wait_loadcnt 0x3
	s_delay_alu instid0(VALU_DEP_2) | instskip(NEXT) | instid1(VALU_DEP_1)
	v_dual_mul_f32 v3, 0.5, v3 :: v_dual_mul_f32 v4, v16, v5
	v_fma_f32 v10, v9, v16, v3
	v_fma_f32 v3, v9, v16, -v3
	s_delay_alu instid0(VALU_DEP_3)
	v_fma_f32 v11, 0.5, v2, v4
	v_fma_f32 v12, v2, 0.5, -v4
	v_add_nc_u32_e32 v2, 0x800, v48
	v_fma_f32 v10, -v15, v5, v10
	v_fma_f32 v4, -v15, v5, v3
	v_fmac_f32_e32 v11, v15, v9
	v_fma_f32 v3, -v15, v9, v12
	ds_store_2addr_b32 v2, v11, v10 offset0:168 offset1:169
	ds_store_b64 v6, v[3:4] offset:8160
	ds_load_b64 v[3:4], v48 offset:3400
	ds_load_b64 v[9:10], v6 offset:7480
	s_wait_dscnt 0x0
	v_sub_f32_e32 v5, v3, v9
	v_add_f32_e32 v11, v4, v10
	v_dual_sub_f32 v4, v4, v10 :: v_dual_add_f32 v3, v3, v9
	s_delay_alu instid0(VALU_DEP_2) | instskip(SKIP_1) | instid1(VALU_DEP_1)
	v_dual_mul_f32 v5, 0.5, v5 :: v_dual_mul_f32 v10, 0.5, v11
	s_wait_loadcnt 0x2
	v_dual_mul_f32 v4, 0.5, v4 :: v_dual_mul_f32 v9, v18, v5
	s_delay_alu instid0(VALU_DEP_1) | instskip(SKIP_1) | instid1(VALU_DEP_3)
	v_fma_f32 v11, v10, v18, v4
	v_fma_f32 v4, v10, v18, -v4
	v_fma_f32 v12, 0.5, v3, v9
	v_fma_f32 v9, v3, 0.5, -v9
	v_add_nc_u32_e32 v3, 0xc00, v48
	v_fma_f32 v11, -v17, v5, v11
	v_fma_f32 v5, -v17, v5, v4
	v_fmac_f32_e32 v12, v17, v10
	v_fma_f32 v4, -v17, v10, v9
	ds_store_2addr_b32 v3, v12, v11 offset0:82 offset1:83
	ds_store_b64 v6, v[4:5] offset:7480
	ds_load_b64 v[4:5], v48 offset:4080
	ds_load_b64 v[9:10], v6 offset:6800
	s_wait_dscnt 0x0
	v_sub_f32_e32 v11, v4, v9
	v_add_f32_e32 v4, v4, v9
	v_add_f32_e32 v12, v5, v10
	s_delay_alu instid0(VALU_DEP_3) | instskip(NEXT) | instid1(VALU_DEP_2)
	v_dual_sub_f32 v5, v5, v10 :: v_dual_mul_f32 v10, 0.5, v11
	v_mul_f32_e32 v11, 0.5, v12
	s_delay_alu instid0(VALU_DEP_2) | instskip(SKIP_1) | instid1(VALU_DEP_3)
	v_mul_f32_e32 v5, 0.5, v5
	s_wait_loadcnt 0x1
	v_mul_f32_e32 v9, v20, v10
	s_delay_alu instid0(VALU_DEP_2) | instskip(SKIP_1) | instid1(VALU_DEP_3)
	v_fma_f32 v12, v11, v20, v5
	v_fma_f32 v5, v11, v20, -v5
	v_fma_f32 v13, 0.5, v4, v9
	v_fma_f32 v4, v4, 0.5, -v9
	s_delay_alu instid0(VALU_DEP_4) | instskip(NEXT) | instid1(VALU_DEP_4)
	v_fma_f32 v9, -v19, v10, v12
	v_fma_f32 v5, -v19, v10, v5
	s_delay_alu instid0(VALU_DEP_4) | instskip(NEXT) | instid1(VALU_DEP_4)
	v_fmac_f32_e32 v13, v19, v11
	v_fma_f32 v4, -v19, v11, v4
	ds_store_2addr_b32 v3, v13, v9 offset0:252 offset1:253
	ds_store_b64 v6, v[4:5] offset:6800
	ds_load_b64 v[4:5], v48 offset:4760
	ds_load_b64 v[9:10], v6 offset:6120
	s_wait_dscnt 0x0
	v_sub_f32_e32 v11, v4, v9
	v_add_f32_e32 v4, v4, v9
	v_add_f32_e32 v12, v5, v10
	s_delay_alu instid0(VALU_DEP_3) | instskip(NEXT) | instid1(VALU_DEP_2)
	v_dual_sub_f32 v5, v5, v10 :: v_dual_mul_f32 v10, 0.5, v11
	v_mul_f32_e32 v11, 0.5, v12
	s_delay_alu instid0(VALU_DEP_2) | instskip(SKIP_1) | instid1(VALU_DEP_3)
	v_mul_f32_e32 v5, 0.5, v5
	s_wait_loadcnt 0x0
	v_mul_f32_e32 v9, v8, v10
	s_delay_alu instid0(VALU_DEP_2) | instskip(SKIP_1) | instid1(VALU_DEP_3)
	v_fma_f32 v12, v11, v8, v5
	v_fma_f32 v5, v11, v8, -v5
	v_fma_f32 v13, 0.5, v4, v9
	v_fma_f32 v9, v4, 0.5, -v9
	v_add_nc_u32_e32 v4, 0x1000, v48
	v_fma_f32 v12, -v7, v10, v12
	v_fma_f32 v8, -v7, v10, v5
	v_fmac_f32_e32 v13, v7, v11
	v_fma_f32 v7, -v7, v11, v9
	ds_store_2addr_b32 v4, v13, v12 offset0:166 offset1:167
	ds_store_b64 v6, v[7:8] offset:6120
	global_wb scope:SCOPE_SE
	s_wait_dscnt 0x0
	s_barrier_signal -1
	s_barrier_wait -1
	global_inv scope:SCOPE_SE
	s_and_saveexec_b32 s0, vcc_lo
	s_cbranch_execz .LBB0_23
; %bb.21:
	v_add_nc_u32_e32 v25, 0x1800, v48
	v_add_nc_u32_e32 v29, 0x1c00, v48
	ds_load_2addr_b64 v[5:8], v48 offset1:85
	ds_load_2addr_b64 v[9:12], v48 offset0:170 offset1:255
	ds_load_2addr_b64 v[13:16], v2 offset0:84 offset1:169
	;; [unrolled: 1-line block ×3, first 2 shown]
	v_add_nc_u32_e32 v30, 0x2000, v48
	v_add_co_u32 v2, vcc_lo, s8, v34
	s_wait_alu 0xfffd
	v_add_co_ci_u32_e32 v3, vcc_lo, s9, v35, vcc_lo
	ds_load_2addr_b64 v[21:24], v4 offset0:168 offset1:253
	ds_load_2addr_b64 v[25:28], v25 offset0:82 offset1:167
	;; [unrolled: 1-line block ×4, first 2 shown]
	v_add_co_u32 v0, vcc_lo, v2, v0
	s_wait_alu 0xfffd
	v_add_co_ci_u32_e32 v1, vcc_lo, v3, v1, vcc_lo
	v_cmp_eq_u32_e32 vcc_lo, 0x54, v32
	s_wait_dscnt 0x7
	s_clause 0x1
	global_store_b64 v[0:1], v[5:6], off
	global_store_b64 v[0:1], v[7:8], off offset:680
	s_wait_dscnt 0x6
	s_clause 0x1
	global_store_b64 v[0:1], v[9:10], off offset:1360
	global_store_b64 v[0:1], v[11:12], off offset:2040
	s_wait_dscnt 0x5
	s_clause 0x1
	global_store_b64 v[0:1], v[13:14], off offset:2720
	;; [unrolled: 4-line block ×7, first 2 shown]
	global_store_b64 v[0:1], v[39:40], off offset:10200
	s_and_b32 exec_lo, exec_lo, vcc_lo
	s_cbranch_execz .LBB0_23
; %bb.22:
	ds_load_b64 v[0:1], v48 offset:10208
	s_wait_dscnt 0x0
	global_store_b64 v[2:3], v[0:1], off offset:10880
.LBB0_23:
	s_nop 0
	s_sendmsg sendmsg(MSG_DEALLOC_VGPRS)
	s_endpgm
	.section	.rodata,"a",@progbits
	.p2align	6, 0x0
	.amdhsa_kernel fft_rtc_fwd_len1360_factors_17_5_16_wgs_255_tpt_85_halfLds_sp_ip_CI_unitstride_sbrr_R2C_dirReg
		.amdhsa_group_segment_fixed_size 0
		.amdhsa_private_segment_fixed_size 0
		.amdhsa_kernarg_size 88
		.amdhsa_user_sgpr_count 2
		.amdhsa_user_sgpr_dispatch_ptr 0
		.amdhsa_user_sgpr_queue_ptr 0
		.amdhsa_user_sgpr_kernarg_segment_ptr 1
		.amdhsa_user_sgpr_dispatch_id 0
		.amdhsa_user_sgpr_private_segment_size 0
		.amdhsa_wavefront_size32 1
		.amdhsa_uses_dynamic_stack 0
		.amdhsa_enable_private_segment 0
		.amdhsa_system_sgpr_workgroup_id_x 1
		.amdhsa_system_sgpr_workgroup_id_y 0
		.amdhsa_system_sgpr_workgroup_id_z 0
		.amdhsa_system_sgpr_workgroup_info 0
		.amdhsa_system_vgpr_workitem_id 0
		.amdhsa_next_free_vgpr 215
		.amdhsa_next_free_sgpr 32
		.amdhsa_reserve_vcc 1
		.amdhsa_float_round_mode_32 0
		.amdhsa_float_round_mode_16_64 0
		.amdhsa_float_denorm_mode_32 3
		.amdhsa_float_denorm_mode_16_64 3
		.amdhsa_fp16_overflow 0
		.amdhsa_workgroup_processor_mode 1
		.amdhsa_memory_ordered 1
		.amdhsa_forward_progress 0
		.amdhsa_round_robin_scheduling 0
		.amdhsa_exception_fp_ieee_invalid_op 0
		.amdhsa_exception_fp_denorm_src 0
		.amdhsa_exception_fp_ieee_div_zero 0
		.amdhsa_exception_fp_ieee_overflow 0
		.amdhsa_exception_fp_ieee_underflow 0
		.amdhsa_exception_fp_ieee_inexact 0
		.amdhsa_exception_int_div_zero 0
	.end_amdhsa_kernel
	.text
.Lfunc_end0:
	.size	fft_rtc_fwd_len1360_factors_17_5_16_wgs_255_tpt_85_halfLds_sp_ip_CI_unitstride_sbrr_R2C_dirReg, .Lfunc_end0-fft_rtc_fwd_len1360_factors_17_5_16_wgs_255_tpt_85_halfLds_sp_ip_CI_unitstride_sbrr_R2C_dirReg
                                        ; -- End function
	.section	.AMDGPU.csdata,"",@progbits
; Kernel info:
; codeLenInByte = 13524
; NumSgprs: 34
; NumVgprs: 215
; ScratchSize: 0
; MemoryBound: 0
; FloatMode: 240
; IeeeMode: 1
; LDSByteSize: 0 bytes/workgroup (compile time only)
; SGPRBlocks: 4
; VGPRBlocks: 26
; NumSGPRsForWavesPerEU: 34
; NumVGPRsForWavesPerEU: 215
; Occupancy: 7
; WaveLimiterHint : 1
; COMPUTE_PGM_RSRC2:SCRATCH_EN: 0
; COMPUTE_PGM_RSRC2:USER_SGPR: 2
; COMPUTE_PGM_RSRC2:TRAP_HANDLER: 0
; COMPUTE_PGM_RSRC2:TGID_X_EN: 1
; COMPUTE_PGM_RSRC2:TGID_Y_EN: 0
; COMPUTE_PGM_RSRC2:TGID_Z_EN: 0
; COMPUTE_PGM_RSRC2:TIDIG_COMP_CNT: 0
	.text
	.p2alignl 7, 3214868480
	.fill 96, 4, 3214868480
	.type	__hip_cuid_c05aec9f8ed2b6fe,@object ; @__hip_cuid_c05aec9f8ed2b6fe
	.section	.bss,"aw",@nobits
	.globl	__hip_cuid_c05aec9f8ed2b6fe
__hip_cuid_c05aec9f8ed2b6fe:
	.byte	0                               ; 0x0
	.size	__hip_cuid_c05aec9f8ed2b6fe, 1

	.ident	"AMD clang version 19.0.0git (https://github.com/RadeonOpenCompute/llvm-project roc-6.4.0 25133 c7fe45cf4b819c5991fe208aaa96edf142730f1d)"
	.section	".note.GNU-stack","",@progbits
	.addrsig
	.addrsig_sym __hip_cuid_c05aec9f8ed2b6fe
	.amdgpu_metadata
---
amdhsa.kernels:
  - .args:
      - .actual_access:  read_only
        .address_space:  global
        .offset:         0
        .size:           8
        .value_kind:     global_buffer
      - .offset:         8
        .size:           8
        .value_kind:     by_value
      - .actual_access:  read_only
        .address_space:  global
        .offset:         16
        .size:           8
        .value_kind:     global_buffer
      - .actual_access:  read_only
        .address_space:  global
        .offset:         24
        .size:           8
        .value_kind:     global_buffer
      - .offset:         32
        .size:           8
        .value_kind:     by_value
      - .actual_access:  read_only
        .address_space:  global
        .offset:         40
        .size:           8
        .value_kind:     global_buffer
      - .actual_access:  read_only
        .address_space:  global
        .offset:         48
        .size:           8
        .value_kind:     global_buffer
      - .offset:         56
        .size:           4
        .value_kind:     by_value
      - .actual_access:  read_only
        .address_space:  global
        .offset:         64
        .size:           8
        .value_kind:     global_buffer
      - .actual_access:  read_only
        .address_space:  global
        .offset:         72
        .size:           8
        .value_kind:     global_buffer
      - .address_space:  global
        .offset:         80
        .size:           8
        .value_kind:     global_buffer
    .group_segment_fixed_size: 0
    .kernarg_segment_align: 8
    .kernarg_segment_size: 88
    .language:       OpenCL C
    .language_version:
      - 2
      - 0
    .max_flat_workgroup_size: 255
    .name:           fft_rtc_fwd_len1360_factors_17_5_16_wgs_255_tpt_85_halfLds_sp_ip_CI_unitstride_sbrr_R2C_dirReg
    .private_segment_fixed_size: 0
    .sgpr_count:     34
    .sgpr_spill_count: 0
    .symbol:         fft_rtc_fwd_len1360_factors_17_5_16_wgs_255_tpt_85_halfLds_sp_ip_CI_unitstride_sbrr_R2C_dirReg.kd
    .uniform_work_group_size: 1
    .uses_dynamic_stack: false
    .vgpr_count:     215
    .vgpr_spill_count: 0
    .wavefront_size: 32
    .workgroup_processor_mode: 1
amdhsa.target:   amdgcn-amd-amdhsa--gfx1201
amdhsa.version:
  - 1
  - 2
...

	.end_amdgpu_metadata
